;; amdgpu-corpus repo=ROCm/rocFFT kind=compiled arch=gfx906 opt=O3
	.text
	.amdgcn_target "amdgcn-amd-amdhsa--gfx906"
	.amdhsa_code_object_version 6
	.protected	bluestein_single_fwd_len1296_dim1_dp_op_CI_CI ; -- Begin function bluestein_single_fwd_len1296_dim1_dp_op_CI_CI
	.globl	bluestein_single_fwd_len1296_dim1_dp_op_CI_CI
	.p2align	8
	.type	bluestein_single_fwd_len1296_dim1_dp_op_CI_CI,@function
bluestein_single_fwd_len1296_dim1_dp_op_CI_CI: ; @bluestein_single_fwd_len1296_dim1_dp_op_CI_CI
; %bb.0:
	s_load_dwordx4 s[16:19], s[4:5], 0x28
	v_mul_u32_u24_e32 v1, 0x25f, v0
	v_add_u32_sdwa v192, s6, v1 dst_sel:DWORD dst_unused:UNUSED_PAD src0_sel:DWORD src1_sel:WORD_1
	v_mov_b32_e32 v193, 0
	s_waitcnt lgkmcnt(0)
	v_cmp_gt_u64_e32 vcc, s[16:17], v[192:193]
	s_and_saveexec_b64 s[0:1], vcc
	s_cbranch_execz .LBB0_2
; %bb.1:
	s_load_dwordx4 s[0:3], s[4:5], 0x18
	s_load_dwordx4 s[8:11], s[4:5], 0x0
	s_movk_i32 s16, 0x6c
	v_mul_lo_u16_sdwa v1, v1, s16 dst_sel:DWORD dst_unused:UNUSED_PAD src0_sel:WORD_1 src1_sel:DWORD
	v_sub_u16_e32 v195, v0, v1
	s_waitcnt lgkmcnt(0)
	s_load_dwordx4 s[12:15], s[0:1], 0x0
	v_lshlrev_b32_e32 v193, 4, v195
	global_load_dwordx4 v[28:31], v193, s[8:9]
	s_movk_i32 s6, 0x1000
	v_mov_b32_e32 v194, 0xffffc340
	s_waitcnt lgkmcnt(0)
	v_mad_u64_u32 v[0:1], s[0:1], s14, v192, 0
	v_mad_u64_u32 v[2:3], s[0:1], s12, v195, 0
	v_mov_b32_e32 v137, s11
	v_mov_b32_e32 v136, s10
	v_mad_u64_u32 v[4:5], s[0:1], s15, v192, v[1:2]
	s_load_dwordx2 s[4:5], s[4:5], 0x38
	v_mad_u64_u32 v[5:6], s[0:1], s13, v195, v[3:4]
	v_mov_b32_e32 v1, v4
	v_lshlrev_b64 v[0:1], 4, v[0:1]
	v_mov_b32_e32 v6, s19
	v_mov_b32_e32 v3, v5
	v_add_co_u32_e32 v4, vcc, s18, v0
	v_addc_co_u32_e32 v5, vcc, v6, v1, vcc
	v_lshlrev_b64 v[0:1], 4, v[2:3]
	v_mov_b32_e32 v2, s9
	v_add_co_u32_e32 v0, vcc, v4, v0
	v_addc_co_u32_e32 v1, vcc, v5, v1, vcc
	v_add_co_u32_e32 v188, vcc, s8, v193
	s_mul_i32 s0, s13, 0xd80
	s_mul_hi_u32 s1, s12, 0xd80
	v_addc_co_u32_e32 v189, vcc, 0, v2, vcc
	s_add_i32 s0, s1, s0
	s_mul_i32 s1, s12, 0xd80
	global_load_dwordx4 v[48:51], v[0:1], off
	v_add_co_u32_e32 v0, vcc, s1, v0
	v_mov_b32_e32 v2, s0
	v_addc_co_u32_e32 v1, vcc, v1, v2, vcc
	global_load_dwordx4 v[52:55], v[0:1], off
	global_load_dwordx4 v[32:35], v193, s[8:9] offset:3456
	v_add_co_u32_e32 v0, vcc, s1, v0
	v_addc_co_u32_e32 v1, vcc, v1, v2, vcc
	v_add_co_u32_e32 v2, vcc, s6, v188
	v_addc_co_u32_e32 v3, vcc, 0, v189, vcc
	global_load_dwordx4 v[56:59], v[0:1], off
	v_add_co_u32_e32 v0, vcc, s1, v0
	v_mov_b32_e32 v4, s0
	v_addc_co_u32_e32 v1, vcc, v1, v4, vcc
	s_movk_i32 s6, 0x2000
	v_add_co_u32_e32 v4, vcc, s6, v188
	global_load_dwordx4 v[36:39], v[2:3], off offset:2816
	v_addc_co_u32_e32 v5, vcc, 0, v189, vcc
	global_load_dwordx4 v[40:43], v[4:5], off offset:2176
	global_load_dwordx4 v[60:63], v[0:1], off
	v_add_co_u32_e32 v0, vcc, s1, v0
	v_mov_b32_e32 v6, s0
	v_addc_co_u32_e32 v1, vcc, v1, v6, vcc
	s_movk_i32 s6, 0x3000
	v_add_co_u32_e32 v6, vcc, s6, v188
	v_addc_co_u32_e32 v7, vcc, 0, v189, vcc
	global_load_dwordx4 v[64:67], v[0:1], off
	v_add_co_u32_e32 v0, vcc, s1, v0
	v_mov_b32_e32 v8, s0
	v_addc_co_u32_e32 v1, vcc, v1, v8, vcc
	s_movk_i32 s6, 0x4000
	global_load_dwordx4 v[68:71], v[0:1], off
	v_add_co_u32_e32 v96, vcc, s6, v188
	v_mad_u64_u32 v[0:1], s[6:7], s12, v194, v[0:1]
	s_mul_i32 s6, s13, 0xffffc340
	s_sub_i32 s6, s6, s12
	global_load_dwordx4 v[44:47], v[6:7], off offset:1536
	v_addc_co_u32_e32 v97, vcc, 0, v189, vcc
	global_load_dwordx4 v[24:27], v[96:97], off offset:896
	v_add_u32_e32 v1, s6, v1
	global_load_dwordx4 v[72:75], v[0:1], off
	global_load_dwordx4 v[20:23], v193, s[8:9] offset:1728
	v_add_co_u32_e32 v0, vcc, s1, v0
	v_addc_co_u32_e32 v1, vcc, v1, v8, vcc
	global_load_dwordx4 v[76:79], v[0:1], off
	global_load_dwordx4 v[16:19], v[2:3], off offset:1088
	v_add_co_u32_e32 v0, vcc, s1, v0
	v_mov_b32_e32 v2, s0
	v_addc_co_u32_e32 v1, vcc, v1, v2, vcc
	global_load_dwordx4 v[80:83], v[0:1], off
	global_load_dwordx4 v[8:11], v[4:5], off offset:448
	v_add_co_u32_e32 v0, vcc, s1, v0
	v_addc_co_u32_e32 v1, vcc, v1, v2, vcc
	global_load_dwordx4 v[84:87], v[0:1], off
	global_load_dwordx4 v[12:15], v[4:5], off offset:3904
	v_add_co_u32_e32 v4, vcc, s1, v0
	v_mov_b32_e32 v0, s0
	v_addc_co_u32_e32 v5, vcc, v1, v0, vcc
	global_load_dwordx4 v[88:91], v[4:5], off
	global_load_dwordx4 v[0:3], v[6:7], off offset:3264
	v_add_co_u32_e32 v98, vcc, s1, v4
	v_mov_b32_e32 v4, s0
	v_addc_co_u32_e32 v99, vcc, v5, v4, vcc
	global_load_dwordx4 v[92:95], v[98:99], off
	global_load_dwordx4 v[4:7], v[96:97], off offset:2624
	s_waitcnt vmcnt(22)
	v_mul_f64 v[96:97], v[50:51], v[30:31]
	v_mul_f64 v[98:99], v[48:49], v[30:31]
	s_load_dwordx4 s[0:3], s[2:3], 0x0
	s_mov_b32 s6, 0xe8584caa
	s_mov_b32 s7, 0x3febb67a
	s_mov_b32 s9, 0xbfebb67a
	s_mov_b32 s8, s6
	s_movk_i32 s13, 0xab
	v_fma_f64 v[48:49], v[48:49], v[28:29], v[96:97]
	v_fma_f64 v[50:51], v[50:51], v[28:29], -v[98:99]
	s_waitcnt vmcnt(20)
	v_mul_f64 v[96:97], v[54:55], v[34:35]
	v_mul_f64 v[98:99], v[52:53], v[34:35]
	s_movk_i32 s12, 0x50
	s_waitcnt vmcnt(18)
	v_mul_f64 v[100:101], v[58:59], v[38:39]
	v_mul_f64 v[102:103], v[56:57], v[38:39]
	v_fma_f64 v[52:53], v[52:53], v[32:33], v[96:97]
	v_fma_f64 v[54:55], v[54:55], v[32:33], -v[98:99]
	s_waitcnt vmcnt(16)
	v_mul_f64 v[104:105], v[62:63], v[42:43]
	v_mul_f64 v[106:107], v[60:61], v[42:43]
	v_fma_f64 v[56:57], v[56:57], v[36:37], v[100:101]
	v_fma_f64 v[58:59], v[58:59], v[36:37], -v[102:103]
	v_fma_f64 v[60:61], v[60:61], v[40:41], v[104:105]
	v_fma_f64 v[62:63], v[62:63], v[40:41], -v[106:107]
	ds_write_b128 v193, v[48:51]
	ds_write_b128 v193, v[52:55] offset:3456
	ds_write_b128 v193, v[56:59] offset:6912
	;; [unrolled: 1-line block ×3, first 2 shown]
	s_waitcnt vmcnt(13)
	v_mul_f64 v[48:49], v[66:67], v[46:47]
	v_mul_f64 v[50:51], v[64:65], v[46:47]
	s_waitcnt vmcnt(12)
	v_mul_f64 v[52:53], v[70:71], v[26:27]
	v_mul_f64 v[54:55], v[68:69], v[26:27]
	;; [unrolled: 3-line block ×3, first 2 shown]
	v_fma_f64 v[48:49], v[64:65], v[44:45], v[48:49]
	v_fma_f64 v[50:51], v[66:67], v[44:45], -v[50:51]
	s_waitcnt vmcnt(8)
	v_mul_f64 v[60:61], v[78:79], v[18:19]
	v_mul_f64 v[62:63], v[76:77], v[18:19]
	v_fma_f64 v[52:53], v[68:69], v[24:25], v[52:53]
	v_fma_f64 v[54:55], v[70:71], v[24:25], -v[54:55]
	v_fma_f64 v[56:57], v[72:73], v[20:21], v[56:57]
	v_fma_f64 v[58:59], v[74:75], v[20:21], -v[58:59]
	s_waitcnt vmcnt(6)
	v_mul_f64 v[64:65], v[82:83], v[10:11]
	v_mul_f64 v[66:67], v[80:81], v[10:11]
	v_fma_f64 v[60:61], v[76:77], v[16:17], v[60:61]
	v_fma_f64 v[62:63], v[78:79], v[16:17], -v[62:63]
	s_waitcnt vmcnt(4)
	v_mul_f64 v[68:69], v[86:87], v[14:15]
	v_mul_f64 v[70:71], v[84:85], v[14:15]
	v_fma_f64 v[64:65], v[80:81], v[8:9], v[64:65]
	v_fma_f64 v[66:67], v[82:83], v[8:9], -v[66:67]
	s_waitcnt vmcnt(2)
	v_mul_f64 v[72:73], v[90:91], v[2:3]
	v_mul_f64 v[74:75], v[88:89], v[2:3]
	v_fma_f64 v[68:69], v[84:85], v[12:13], v[68:69]
	v_fma_f64 v[70:71], v[86:87], v[12:13], -v[70:71]
	s_waitcnt vmcnt(0)
	v_mul_f64 v[76:77], v[94:95], v[6:7]
	v_mul_f64 v[78:79], v[92:93], v[6:7]
	v_fma_f64 v[72:73], v[88:89], v[0:1], v[72:73]
	v_fma_f64 v[74:75], v[90:91], v[0:1], -v[74:75]
	v_fma_f64 v[76:77], v[92:93], v[4:5], v[76:77]
	v_fma_f64 v[78:79], v[94:95], v[4:5], -v[78:79]
	ds_write_b128 v193, v[48:51] offset:13824
	ds_write_b128 v193, v[52:55] offset:17280
	;; [unrolled: 1-line block ×8, first 2 shown]
	s_waitcnt lgkmcnt(0)
	s_barrier
	ds_read_b128 v[48:51], v193
	ds_read_b128 v[52:55], v193 offset:3456
	ds_read_b128 v[56:59], v193 offset:6912
	;; [unrolled: 1-line block ×7, first 2 shown]
	s_waitcnt lgkmcnt(4)
	v_add_f64 v[96:97], v[56:57], v[60:61]
	v_add_f64 v[102:103], v[48:49], v[56:57]
	s_waitcnt lgkmcnt(2)
	v_add_f64 v[98:99], v[64:65], v[68:69]
	v_add_f64 v[100:101], v[66:67], v[70:71]
	;; [unrolled: 1-line block ×3, first 2 shown]
	v_add_f64 v[64:65], v[64:65], -v[68:69]
	v_add_f64 v[104:105], v[58:59], v[62:63]
	v_add_f64 v[56:57], v[56:57], -v[60:61]
	v_fma_f64 v[48:49], v[96:97], -0.5, v[48:49]
	v_add_f64 v[96:97], v[58:59], -v[62:63]
	v_fma_f64 v[52:53], v[98:99], -0.5, v[52:53]
	v_fma_f64 v[98:99], v[100:101], -0.5, v[54:55]
	v_add_f64 v[54:55], v[54:55], v[66:67]
	v_add_f64 v[66:67], v[66:67], -v[70:71]
	v_add_f64 v[58:59], v[50:51], v[58:59]
	v_add_f64 v[102:103], v[102:103], v[60:61]
	v_fma_f64 v[50:51], v[104:105], -0.5, v[50:51]
	ds_read_b128 v[80:83], v193 offset:8640
	ds_read_b128 v[84:87], v193 offset:12096
	;; [unrolled: 1-line block ×4, first 2 shown]
	v_fma_f64 v[100:101], v[64:65], s[8:9], v[98:99]
	v_add_f64 v[54:55], v[54:55], v[70:71]
	v_fma_f64 v[60:61], v[66:67], s[6:7], v[52:53]
	v_add_f64 v[58:59], v[58:59], v[62:63]
	v_add_f64 v[62:63], v[106:107], v[68:69]
	v_fma_f64 v[66:67], v[66:67], s[8:9], v[52:53]
	v_fma_f64 v[108:109], v[96:97], s[6:7], v[48:49]
	;; [unrolled: 1-line block ×3, first 2 shown]
	v_mul_f64 v[68:69], v[100:101], s[6:7]
	v_fma_f64 v[70:71], v[56:57], s[8:9], v[50:51]
	v_mul_f64 v[52:53], v[60:61], s[8:9]
	v_fma_f64 v[105:106], v[56:57], s[6:7], v[50:51]
	v_fma_f64 v[56:57], v[64:65], s[6:7], v[98:99]
	v_add_f64 v[48:49], v[102:103], v[62:63]
	v_add_f64 v[50:51], v[58:59], v[54:55]
	v_add_f64 v[54:55], v[58:59], -v[54:55]
	v_fma_f64 v[64:65], v[60:61], 0.5, v[68:69]
	v_mul_f64 v[60:61], v[66:67], -0.5
	v_fma_f64 v[98:99], v[100:101], 0.5, v[52:53]
	v_add_f64 v[52:53], v[102:103], -v[62:63]
	s_waitcnt lgkmcnt(3)
	v_add_f64 v[58:59], v[72:73], v[80:81]
	s_waitcnt lgkmcnt(1)
	v_add_f64 v[62:63], v[80:81], v[88:89]
	;; [unrolled: 2-line block ×3, first 2 shown]
	v_add_f64 v[100:101], v[74:75], v[82:83]
	v_add_f64 v[110:111], v[84:85], v[92:93]
	v_add_f64 v[80:81], v[80:81], -v[88:89]
	v_fma_f64 v[112:113], v[56:57], s[6:7], v[60:61]
	v_mul_f64 v[56:57], v[56:57], -0.5
	v_add_f64 v[88:89], v[58:59], v[88:89]
	v_fma_f64 v[58:59], v[62:63], -0.5, v[72:73]
	v_fma_f64 v[60:61], v[102:103], -0.5, v[78:79]
	v_add_f64 v[62:63], v[84:85], -v[92:93]
	v_add_f64 v[68:69], v[82:83], -v[90:91]
	v_add_f64 v[82:83], v[82:83], v[90:91]
	v_add_f64 v[90:91], v[100:101], v[90:91]
	v_fma_f64 v[72:73], v[110:111], -0.5, v[76:77]
	v_add_f64 v[100:101], v[86:87], -v[94:95]
	v_fma_f64 v[102:103], v[66:67], s[8:9], v[56:57]
	v_add_co_u32_e32 v104, vcc, s16, v195
	v_fma_f64 v[66:67], v[62:63], s[8:9], v[60:61]
	v_fma_f64 v[110:111], v[68:69], s[6:7], v[58:59]
	;; [unrolled: 1-line block ×3, first 2 shown]
	v_fma_f64 v[56:57], v[82:83], -0.5, v[74:75]
	v_fma_f64 v[74:75], v[100:101], s[8:9], v[72:73]
	v_fma_f64 v[58:59], v[100:101], s[6:7], v[72:73]
	v_add_f64 v[72:73], v[78:79], v[86:87]
	v_add_f64 v[68:69], v[76:77], v[84:85]
	v_mul_f64 v[76:77], v[66:67], s[6:7]
	v_fma_f64 v[60:61], v[62:63], s[6:7], v[60:61]
	v_fma_f64 v[100:101], v[80:81], s[8:9], v[56:57]
	v_mul_f64 v[62:63], v[74:75], -0.5
	v_fma_f64 v[116:117], v[80:81], s[6:7], v[56:57]
	v_add_f64 v[86:87], v[72:73], v[94:95]
	v_mul_f64 v[72:73], v[58:59], s[8:9]
	v_add_f64 v[84:85], v[68:69], v[92:93]
	v_fma_f64 v[92:93], v[58:59], 0.5, v[76:77]
	v_mul_f64 v[76:77], v[60:61], -0.5
	v_add_f64 v[68:69], v[96:97], -v[112:113]
	v_fma_f64 v[94:95], v[60:61], s[6:7], v[62:63]
	v_add_f64 v[60:61], v[96:97], v[112:113]
	v_add_f64 v[56:57], v[108:109], v[64:65]
	v_fma_f64 v[96:97], v[66:67], 0.5, v[72:73]
	v_add_f64 v[58:59], v[70:71], v[98:99]
	v_add_f64 v[62:63], v[105:106], v[102:103]
	v_add_f64 v[64:65], v[108:109], -v[64:65]
	v_fma_f64 v[107:108], v[74:75], s[8:9], v[76:77]
	v_add_f64 v[66:67], v[70:71], -v[98:99]
	v_add_f64 v[70:71], v[105:106], -v[102:103]
	v_add_f64 v[74:75], v[90:91], v[86:87]
	v_add_f64 v[78:79], v[100:101], v[96:97]
	v_add_f64 v[86:87], v[90:91], -v[86:87]
	v_add_f64 v[90:91], v[100:101], -v[96:97]
	v_mul_lo_u16_e32 v96, 6, v195
	v_lshlrev_b32_e32 v198, 4, v96
	s_barrier
	ds_write_b128 v198, v[48:51]
	ds_write_b128 v198, v[56:59] offset:16
	ds_write_b128 v198, v[60:63] offset:32
	;; [unrolled: 1-line block ×5, first 2 shown]
	v_mul_u32_u24_e32 v48, 6, v104
	v_lshlrev_b32_e32 v196, 4, v48
	v_mul_lo_u16_sdwa v48, v195, s13 dst_sel:DWORD dst_unused:UNUSED_PAD src0_sel:BYTE_0 src1_sel:DWORD
	v_add_f64 v[72:73], v[88:89], v[84:85]
	v_lshrrev_b16_e32 v100, 10, v48
	v_add_f64 v[76:77], v[110:111], v[92:93]
	v_mul_lo_u16_e32 v48, 6, v100
	v_add_f64 v[80:81], v[114:115], v[94:95]
	v_add_f64 v[82:83], v[116:117], v[107:108]
	v_sub_u16_e32 v48, v195, v48
	v_add_f64 v[84:85], v[88:89], -v[84:85]
	v_and_b32_e32 v101, 0xff, v48
	v_add_f64 v[88:89], v[110:111], -v[92:93]
	v_mad_u64_u32 v[64:65], s[10:11], v101, s12, v[136:137]
	v_add_f64 v[92:93], v[114:115], -v[94:95]
	v_add_f64 v[94:95], v[116:117], -v[107:108]
	ds_write_b128 v196, v[72:75]
	ds_write_b128 v196, v[76:79] offset:16
	ds_write_b128 v196, v[80:83] offset:32
	;; [unrolled: 1-line block ×5, first 2 shown]
	s_waitcnt lgkmcnt(0)
	s_barrier
	global_load_dwordx4 v[68:71], v[64:65], off
	global_load_dwordx4 v[60:63], v[64:65], off offset:16
	global_load_dwordx4 v[56:59], v[64:65], off offset:32
	;; [unrolled: 1-line block ×4, first 2 shown]
	v_mul_lo_u16_sdwa v64, v104, s13 dst_sel:DWORD dst_unused:UNUSED_PAD src0_sel:BYTE_0 src1_sel:DWORD
	v_lshrrev_b16_e32 v102, 10, v64
	v_mul_lo_u16_e32 v64, 6, v102
	v_sub_u16_e32 v64, v104, v64
	v_and_b32_e32 v103, 0xff, v64
	v_mad_u64_u32 v[88:89], s[10:11], v103, s12, v[136:137]
	v_mul_u32_u24_e32 v100, 36, v100
	v_add_lshl_u32 v200, v100, v101, 4
	global_load_dwordx4 v[64:67], v[88:89], off
	ds_read_b128 v[72:75], v193 offset:3456
	ds_read_b128 v[76:79], v193 offset:6912
	;; [unrolled: 1-line block ×4, first 2 shown]
	s_waitcnt vmcnt(5) lgkmcnt(3)
	v_mul_f64 v[90:91], v[74:75], v[70:71]
	s_waitcnt vmcnt(4) lgkmcnt(2)
	v_mul_f64 v[94:95], v[78:79], v[62:63]
	v_mul_f64 v[96:97], v[76:77], v[62:63]
	;; [unrolled: 1-line block ×3, first 2 shown]
	v_fma_f64 v[105:106], v[72:73], v[68:69], -v[90:91]
	v_fma_f64 v[109:110], v[76:77], v[60:61], -v[94:95]
	v_fma_f64 v[111:112], v[78:79], v[60:61], v[96:97]
	s_waitcnt vmcnt(2) lgkmcnt(0)
	v_mul_f64 v[76:77], v[86:87], v[54:55]
	v_mul_f64 v[78:79], v[84:85], v[54:55]
	v_fma_f64 v[107:108], v[74:75], v[68:69], v[92:93]
	v_mul_f64 v[72:73], v[82:83], v[58:59]
	v_mul_f64 v[74:75], v[80:81], v[58:59]
	v_fma_f64 v[117:118], v[84:85], v[52:53], -v[76:77]
	v_fma_f64 v[119:120], v[86:87], v[52:53], v[78:79]
	global_load_dwordx4 v[84:87], v[88:89], off offset:16
	v_fma_f64 v[113:114], v[80:81], v[56:57], -v[72:73]
	v_fma_f64 v[115:116], v[82:83], v[56:57], v[74:75]
	global_load_dwordx4 v[80:83], v[88:89], off offset:32
	ds_read_b128 v[72:75], v193 offset:17280
	s_waitcnt vmcnt(3) lgkmcnt(0)
	v_mul_f64 v[76:77], v[74:75], v[50:51]
	v_mul_f64 v[78:79], v[72:73], v[50:51]
	v_fma_f64 v[121:122], v[72:73], v[48:49], -v[76:77]
	v_fma_f64 v[123:124], v[74:75], v[48:49], v[78:79]
	ds_read_b128 v[72:75], v193 offset:5184
	s_waitcnt vmcnt(2) lgkmcnt(0)
	v_mul_f64 v[76:77], v[74:75], v[66:67]
	v_fma_f64 v[96:97], v[72:73], v[64:65], -v[76:77]
	v_mul_f64 v[72:73], v[72:73], v[66:67]
	v_fma_f64 v[98:99], v[74:75], v[64:65], v[72:73]
	ds_read_b128 v[72:75], v193 offset:8640
	s_waitcnt vmcnt(1) lgkmcnt(0)
	v_mul_f64 v[76:77], v[74:75], v[86:87]
	v_fma_f64 v[129:130], v[72:73], v[84:85], -v[76:77]
	v_mul_f64 v[72:73], v[72:73], v[86:87]
	v_fma_f64 v[131:132], v[74:75], v[84:85], v[72:73]
	ds_read_b128 v[72:75], v193 offset:12096
	s_waitcnt vmcnt(0) lgkmcnt(0)
	v_mul_f64 v[76:77], v[74:75], v[82:83]
	v_fma_f64 v[133:134], v[72:73], v[80:81], -v[76:77]
	global_load_dwordx4 v[76:79], v[88:89], off offset:48
	v_mul_f64 v[72:73], v[72:73], v[82:83]
	v_fma_f64 v[138:139], v[74:75], v[80:81], v[72:73]
	ds_read_b128 v[72:75], v193 offset:15552
	s_waitcnt vmcnt(0) lgkmcnt(0)
	v_mul_f64 v[90:91], v[74:75], v[78:79]
	v_fma_f64 v[140:141], v[72:73], v[76:77], -v[90:91]
	v_mul_f64 v[72:73], v[72:73], v[78:79]
	v_fma_f64 v[142:143], v[74:75], v[76:77], v[72:73]
	global_load_dwordx4 v[72:75], v[88:89], off offset:64
	ds_read_b128 v[88:91], v193 offset:19008
	s_waitcnt vmcnt(0) lgkmcnt(0)
	v_mul_f64 v[92:93], v[90:91], v[74:75]
	v_fma_f64 v[144:145], v[88:89], v[72:73], -v[92:93]
	v_mul_f64 v[88:89], v[88:89], v[74:75]
	v_add_f64 v[92:93], v[109:110], v[117:118]
	v_fma_f64 v[146:147], v[90:91], v[72:73], v[88:89]
	ds_read_b128 v[88:91], v193
	s_waitcnt lgkmcnt(0)
	v_fma_f64 v[125:126], v[92:93], -0.5, v[88:89]
	v_add_f64 v[92:93], v[111:112], v[119:120]
	v_add_f64 v[88:89], v[88:89], v[109:110]
	v_fma_f64 v[127:128], v[92:93], -0.5, v[90:91]
	v_add_f64 v[92:93], v[105:106], v[113:114]
	v_add_f64 v[88:89], v[88:89], v[117:118]
	;; [unrolled: 1-line block ×3, first 2 shown]
	v_add_f64 v[117:118], v[109:110], -v[117:118]
	v_add_f64 v[148:149], v[92:93], v[121:122]
	v_add_f64 v[92:93], v[107:108], v[115:116]
	;; [unrolled: 1-line block ×3, first 2 shown]
	v_add_f64 v[119:120], v[111:112], -v[119:120]
	v_add_f64 v[150:151], v[92:93], v[123:124]
	v_add_f64 v[92:93], v[88:89], v[148:149]
	v_add_f64 v[88:89], v[88:89], -v[148:149]
	v_add_f64 v[148:149], v[115:116], v[123:124]
	v_add_f64 v[115:116], v[115:116], -v[123:124]
	v_fma_f64 v[123:124], v[119:120], s[6:7], v[125:126]
	v_fma_f64 v[119:120], v[119:120], s[8:9], v[125:126]
	v_add_f64 v[125:126], v[129:130], v[140:141]
	v_add_f64 v[94:95], v[90:91], v[150:151]
	v_add_f64 v[90:91], v[90:91], -v[150:151]
	v_fma_f64 v[150:151], v[117:118], s[8:9], v[127:128]
	v_fma_f64 v[148:149], v[148:149], -0.5, v[107:108]
	v_add_f64 v[107:108], v[113:114], v[121:122]
	v_add_f64 v[113:114], v[113:114], -v[121:122]
	v_fma_f64 v[121:122], v[107:108], -0.5, v[105:106]
	v_fma_f64 v[105:106], v[113:114], s[8:9], v[148:149]
	v_fma_f64 v[113:114], v[113:114], s[6:7], v[148:149]
	;; [unrolled: 1-line block ×4, first 2 shown]
	v_mul_f64 v[109:110], v[105:106], s[6:7]
	v_fma_f64 v[121:122], v[117:118], s[6:7], v[127:128]
	v_mul_f64 v[117:118], v[115:116], -0.5
	v_fma_f64 v[109:110], v[107:108], 0.5, v[109:110]
	v_mul_f64 v[107:108], v[107:108], s[8:9]
	v_fma_f64 v[117:118], v[113:114], s[6:7], v[117:118]
	v_mul_f64 v[113:114], v[113:114], -0.5
	v_fma_f64 v[111:112], v[105:106], 0.5, v[107:108]
	v_add_f64 v[105:106], v[123:124], v[109:110]
	v_add_f64 v[109:110], v[123:124], -v[109:110]
	v_fma_f64 v[123:124], v[115:116], s[8:9], v[113:114]
	v_add_f64 v[113:114], v[119:120], v[117:118]
	v_add_f64 v[117:118], v[119:120], -v[117:118]
	v_add_f64 v[107:108], v[150:151], v[111:112]
	v_add_f64 v[111:112], v[150:151], -v[111:112]
	;; [unrolled: 2-line block ×3, first 2 shown]
	ds_read_b128 v[121:124], v193 offset:1728
	s_waitcnt lgkmcnt(0)
	s_barrier
	ds_write_b128 v200, v[92:95]
	ds_write_b128 v200, v[105:108] offset:96
	ds_write_b128 v200, v[113:116] offset:192
	;; [unrolled: 1-line block ×5, first 2 shown]
	v_fma_f64 v[148:149], v[125:126], -0.5, v[121:122]
	v_add_f64 v[125:126], v[131:132], v[142:143]
	v_add_f64 v[121:122], v[121:122], v[129:130]
	v_mul_u32_u24_e32 v88, 36, v102
	v_mov_b32_e32 v111, 57
	v_add_lshl_u32 v197, v88, v103, 4
	v_mul_lo_u16_sdwa v88, v195, v111 dst_sel:DWORD dst_unused:UNUSED_PAD src0_sel:BYTE_0 src1_sel:DWORD
	v_fma_f64 v[150:151], v[125:126], -0.5, v[123:124]
	v_add_f64 v[125:126], v[121:122], v[140:141]
	v_add_f64 v[121:122], v[96:97], v[133:134]
	;; [unrolled: 1-line block ×3, first 2 shown]
	v_add_f64 v[140:141], v[129:130], -v[140:141]
	v_add_f64 v[152:153], v[121:122], v[144:145]
	v_add_f64 v[121:122], v[98:99], v[138:139]
	;; [unrolled: 1-line block ×3, first 2 shown]
	v_add_f64 v[142:143], v[131:132], -v[142:143]
	v_add_f64 v[154:155], v[121:122], v[146:147]
	v_add_f64 v[121:122], v[125:126], v[152:153]
	v_add_f64 v[125:126], v[125:126], -v[152:153]
	v_add_f64 v[152:153], v[138:139], v[146:147]
	v_add_f64 v[138:139], v[138:139], -v[146:147]
	v_fma_f64 v[146:147], v[142:143], s[6:7], v[148:149]
	v_fma_f64 v[142:143], v[142:143], s[8:9], v[148:149]
	v_add_f64 v[123:124], v[127:128], v[154:155]
	v_add_f64 v[127:128], v[127:128], -v[154:155]
	v_fma_f64 v[154:155], v[140:141], s[8:9], v[150:151]
	v_fma_f64 v[152:153], v[152:153], -0.5, v[98:99]
	v_add_f64 v[98:99], v[133:134], v[144:145]
	v_add_f64 v[133:134], v[133:134], -v[144:145]
	v_fma_f64 v[144:145], v[98:99], -0.5, v[96:97]
	v_fma_f64 v[96:97], v[133:134], s[8:9], v[152:153]
	v_fma_f64 v[133:134], v[133:134], s[6:7], v[152:153]
	;; [unrolled: 1-line block ×3, first 2 shown]
	v_mul_f64 v[129:130], v[96:97], s[6:7]
	v_fma_f64 v[138:139], v[138:139], s[8:9], v[144:145]
	v_fma_f64 v[144:145], v[140:141], s[6:7], v[150:151]
	v_fma_f64 v[129:130], v[98:99], 0.5, v[129:130]
	v_mul_f64 v[98:99], v[98:99], s[8:9]
	v_mul_f64 v[140:141], v[138:139], -0.5
	v_fma_f64 v[131:132], v[96:97], 0.5, v[98:99]
	v_add_f64 v[96:97], v[146:147], v[129:130]
	v_add_f64 v[129:130], v[146:147], -v[129:130]
	v_fma_f64 v[146:147], v[133:134], s[6:7], v[140:141]
	v_mul_f64 v[133:134], v[133:134], -0.5
	v_add_f64 v[98:99], v[154:155], v[131:132]
	v_add_f64 v[131:132], v[154:155], -v[131:132]
	v_fma_f64 v[133:134], v[138:139], s[8:9], v[133:134]
	v_add_f64 v[138:139], v[142:143], v[146:147]
	v_add_f64 v[142:143], v[142:143], -v[146:147]
	v_add_f64 v[140:141], v[144:145], v[133:134]
	v_add_f64 v[144:145], v[144:145], -v[133:134]
	ds_write_b128 v197, v[121:124]
	ds_write_b128 v197, v[96:99] offset:96
	ds_write_b128 v197, v[138:141] offset:192
	;; [unrolled: 1-line block ×5, first 2 shown]
	v_lshrrev_b16_e32 v142, 11, v88
	v_mul_lo_u16_e32 v88, 36, v142
	v_sub_u16_e32 v88, v195, v88
	v_and_b32_e32 v143, 0xff, v88
	v_mad_u64_u32 v[105:106], s[10:11], v143, s12, v[136:137]
	s_waitcnt lgkmcnt(0)
	s_barrier
	global_load_dwordx4 v[132:135], v[105:106], off offset:480
	ds_read_b128 v[88:91], v193 offset:3456
	v_mul_u32_u24_e32 v142, 0xd8, v142
	s_waitcnt vmcnt(0) lgkmcnt(0)
	v_mul_f64 v[92:93], v[90:91], v[134:135]
	v_fma_f64 v[146:147], v[88:89], v[132:133], -v[92:93]
	v_mul_f64 v[88:89], v[88:89], v[134:135]
	ds_read_b128 v[92:95], v193 offset:6912
	v_fma_f64 v[148:149], v[90:91], v[132:133], v[88:89]
	global_load_dwordx4 v[88:91], v[105:106], off offset:496
	s_waitcnt vmcnt(0) lgkmcnt(0)
	v_mul_f64 v[96:97], v[94:95], v[90:91]
	v_fma_f64 v[150:151], v[92:93], v[88:89], -v[96:97]
	v_mul_f64 v[92:93], v[92:93], v[90:91]
	ds_read_b128 v[96:99], v193 offset:10368
	v_fma_f64 v[152:153], v[94:95], v[88:89], v[92:93]
	global_load_dwordx4 v[92:95], v[105:106], off offset:512
	;; [unrolled: 7-line block ×3, first 2 shown]
	s_waitcnt vmcnt(0) lgkmcnt(0)
	v_mul_f64 v[107:108], v[102:103], v[98:99]
	v_fma_f64 v[158:159], v[100:101], v[96:97], -v[107:108]
	v_mul_f64 v[100:101], v[100:101], v[98:99]
	v_fma_f64 v[160:161], v[102:103], v[96:97], v[100:101]
	global_load_dwordx4 v[100:103], v[105:106], off offset:544
	ds_read_b128 v[105:108], v193 offset:17280
	s_waitcnt vmcnt(0) lgkmcnt(0)
	v_mul_f64 v[109:110], v[107:108], v[102:103]
	v_fma_f64 v[162:163], v[105:106], v[100:101], -v[109:110]
	v_mul_f64 v[105:106], v[105:106], v[102:103]
	v_fma_f64 v[164:165], v[107:108], v[100:101], v[105:106]
	v_mul_lo_u16_sdwa v105, v104, v111 dst_sel:DWORD dst_unused:UNUSED_PAD src0_sel:BYTE_0 src1_sel:DWORD
	v_lshrrev_b16_e32 v144, 11, v105
	v_mul_lo_u16_e32 v105, 36, v144
	v_sub_u16_e32 v104, v104, v105
	v_and_b32_e32 v145, 0xff, v104
	v_mad_u64_u32 v[120:121], s[10:11], v145, s12, v[136:137]
	ds_read_b128 v[108:111], v193 offset:5184
	global_load_dwordx4 v[104:107], v[120:121], off offset:480
	global_load_dwordx4 v[128:131], v[120:121], off offset:496
	;; [unrolled: 1-line block ×3, first 2 shown]
	s_waitcnt vmcnt(2) lgkmcnt(0)
	v_mul_f64 v[112:113], v[110:111], v[106:107]
	v_fma_f64 v[138:139], v[108:109], v[104:105], -v[112:113]
	v_mul_f64 v[108:109], v[108:109], v[106:107]
	v_fma_f64 v[140:141], v[110:111], v[104:105], v[108:109]
	ds_read_b128 v[108:111], v193 offset:8640
	s_waitcnt vmcnt(1) lgkmcnt(0)
	v_mul_f64 v[112:113], v[110:111], v[130:131]
	v_fma_f64 v[170:171], v[108:109], v[128:129], -v[112:113]
	v_mul_f64 v[108:109], v[108:109], v[130:131]
	v_fma_f64 v[172:173], v[110:111], v[128:129], v[108:109]
	ds_read_b128 v[108:111], v193 offset:12096
	s_waitcnt vmcnt(0) lgkmcnt(0)
	v_mul_f64 v[112:113], v[110:111], v[118:119]
	v_fma_f64 v[174:175], v[108:109], v[116:117], -v[112:113]
	global_load_dwordx4 v[112:115], v[120:121], off offset:528
	v_mul_f64 v[108:109], v[108:109], v[118:119]
	v_fma_f64 v[176:177], v[110:111], v[116:117], v[108:109]
	ds_read_b128 v[108:111], v193 offset:15552
	s_waitcnt vmcnt(0) lgkmcnt(0)
	v_mul_f64 v[122:123], v[110:111], v[114:115]
	v_fma_f64 v[178:179], v[108:109], v[112:113], -v[122:123]
	v_mul_f64 v[108:109], v[108:109], v[114:115]
	v_fma_f64 v[180:181], v[110:111], v[112:113], v[108:109]
	global_load_dwordx4 v[108:111], v[120:121], off offset:544
	ds_read_b128 v[120:123], v193 offset:19008
	s_waitcnt vmcnt(0) lgkmcnt(0)
	v_mul_f64 v[124:125], v[122:123], v[110:111]
	v_fma_f64 v[182:183], v[120:121], v[108:109], -v[124:125]
	v_mul_f64 v[120:121], v[120:121], v[110:111]
	v_add_f64 v[124:125], v[150:151], v[158:159]
	v_fma_f64 v[184:185], v[122:123], v[108:109], v[120:121]
	ds_read_b128 v[120:123], v193
	s_waitcnt lgkmcnt(0)
	v_fma_f64 v[166:167], v[124:125], -0.5, v[120:121]
	v_add_f64 v[124:125], v[152:153], v[160:161]
	v_add_f64 v[120:121], v[120:121], v[150:151]
	v_fma_f64 v[168:169], v[124:125], -0.5, v[122:123]
	v_add_f64 v[124:125], v[146:147], v[154:155]
	v_add_f64 v[120:121], v[120:121], v[158:159]
	;; [unrolled: 1-line block ×3, first 2 shown]
	v_add_f64 v[158:159], v[150:151], -v[158:159]
	v_add_f64 v[186:187], v[124:125], v[162:163]
	v_add_f64 v[124:125], v[148:149], v[156:157]
	;; [unrolled: 1-line block ×3, first 2 shown]
	v_add_f64 v[160:161], v[152:153], -v[160:161]
	v_add_f64 v[190:191], v[124:125], v[164:165]
	v_add_f64 v[124:125], v[120:121], v[186:187]
	v_add_f64 v[120:121], v[120:121], -v[186:187]
	v_add_f64 v[186:187], v[156:157], v[164:165]
	v_add_f64 v[156:157], v[156:157], -v[164:165]
	v_fma_f64 v[164:165], v[160:161], s[6:7], v[166:167]
	v_fma_f64 v[160:161], v[160:161], s[8:9], v[166:167]
	v_add_f64 v[166:167], v[170:171], v[178:179]
	v_add_f64 v[126:127], v[122:123], v[190:191]
	v_add_f64 v[122:123], v[122:123], -v[190:191]
	v_fma_f64 v[190:191], v[158:159], s[8:9], v[168:169]
	v_fma_f64 v[186:187], v[186:187], -0.5, v[148:149]
	v_add_f64 v[148:149], v[154:155], v[162:163]
	v_add_f64 v[154:155], v[154:155], -v[162:163]
	v_fma_f64 v[162:163], v[148:149], -0.5, v[146:147]
	v_fma_f64 v[146:147], v[154:155], s[8:9], v[186:187]
	v_fma_f64 v[154:155], v[154:155], s[6:7], v[186:187]
	;; [unrolled: 1-line block ×4, first 2 shown]
	v_mul_f64 v[150:151], v[146:147], s[6:7]
	v_fma_f64 v[162:163], v[158:159], s[6:7], v[168:169]
	v_mul_f64 v[158:159], v[156:157], -0.5
	v_fma_f64 v[150:151], v[148:149], 0.5, v[150:151]
	v_mul_f64 v[148:149], v[148:149], s[8:9]
	v_fma_f64 v[158:159], v[154:155], s[6:7], v[158:159]
	v_mul_f64 v[154:155], v[154:155], -0.5
	v_fma_f64 v[152:153], v[146:147], 0.5, v[148:149]
	v_add_f64 v[146:147], v[164:165], v[150:151]
	v_add_f64 v[150:151], v[164:165], -v[150:151]
	v_fma_f64 v[164:165], v[156:157], s[8:9], v[154:155]
	v_add_f64 v[154:155], v[160:161], v[158:159]
	v_add_f64 v[158:159], v[160:161], -v[158:159]
	v_add_f64 v[148:149], v[190:191], v[152:153]
	v_add_f64 v[152:153], v[190:191], -v[152:153]
	;; [unrolled: 2-line block ×3, first 2 shown]
	ds_read_b128 v[162:165], v193 offset:1728
	s_waitcnt lgkmcnt(0)
	s_barrier
	v_fma_f64 v[186:187], v[166:167], -0.5, v[162:163]
	v_add_f64 v[166:167], v[172:173], v[180:181]
	v_add_f64 v[162:163], v[162:163], v[170:171]
	v_fma_f64 v[190:191], v[166:167], -0.5, v[164:165]
	v_add_f64 v[166:167], v[162:163], v[178:179]
	v_add_f64 v[162:163], v[138:139], v[174:175]
	;; [unrolled: 1-line block ×3, first 2 shown]
	v_add_f64 v[178:179], v[170:171], -v[178:179]
	v_add_f64 v[201:202], v[162:163], v[182:183]
	v_add_f64 v[162:163], v[140:141], v[176:177]
	;; [unrolled: 1-line block ×3, first 2 shown]
	v_add_f64 v[180:181], v[172:173], -v[180:181]
	v_add_f64 v[203:204], v[162:163], v[184:185]
	v_add_f64 v[162:163], v[166:167], v[201:202]
	v_add_f64 v[166:167], v[166:167], -v[201:202]
	v_add_f64 v[201:202], v[176:177], v[184:185]
	v_add_f64 v[176:177], v[176:177], -v[184:185]
	v_fma_f64 v[184:185], v[180:181], s[6:7], v[186:187]
	v_fma_f64 v[180:181], v[180:181], s[8:9], v[186:187]
	v_add_f64 v[164:165], v[168:169], v[203:204]
	v_add_f64 v[168:169], v[168:169], -v[203:204]
	v_fma_f64 v[203:204], v[178:179], s[8:9], v[190:191]
	v_fma_f64 v[201:202], v[201:202], -0.5, v[140:141]
	v_add_f64 v[140:141], v[174:175], v[182:183]
	v_add_f64 v[174:175], v[174:175], -v[182:183]
	v_fma_f64 v[182:183], v[140:141], -0.5, v[138:139]
	v_fma_f64 v[138:139], v[174:175], s[8:9], v[201:202]
	v_fma_f64 v[174:175], v[174:175], s[6:7], v[201:202]
	v_add_lshl_u32 v201, v142, v143, 4
	ds_write_b128 v201, v[124:127]
	ds_write_b128 v201, v[146:149] offset:576
	ds_write_b128 v201, v[154:157] offset:1152
	;; [unrolled: 1-line block ×5, first 2 shown]
	v_mad_u64_u32 v[124:125], s[10:11], v195, s12, v[136:137]
	v_mul_u32_u24_e32 v120, 0xd8, v144
	v_fma_f64 v[140:141], v[176:177], s[6:7], v[182:183]
	v_fma_f64 v[176:177], v[176:177], s[8:9], v[182:183]
	v_mul_f64 v[170:171], v[138:139], s[6:7]
	v_fma_f64 v[182:183], v[178:179], s[6:7], v[190:191]
	v_add_lshl_u32 v199, v120, v145, 4
	s_movk_i32 s10, 0x21c0
	v_mul_f64 v[178:179], v[176:177], -0.5
	v_fma_f64 v[170:171], v[140:141], 0.5, v[170:171]
	v_mul_f64 v[140:141], v[140:141], s[8:9]
	v_fma_f64 v[178:179], v[174:175], s[6:7], v[178:179]
	v_mul_f64 v[174:175], v[174:175], -0.5
	v_fma_f64 v[172:173], v[138:139], 0.5, v[140:141]
	v_add_f64 v[138:139], v[184:185], v[170:171]
	v_add_f64 v[170:171], v[184:185], -v[170:171]
	v_fma_f64 v[184:185], v[176:177], s[8:9], v[174:175]
	v_add_f64 v[140:141], v[203:204], v[172:173]
	v_add_f64 v[174:175], v[180:181], v[178:179]
	v_add_f64 v[172:173], v[203:204], -v[172:173]
	v_add_f64 v[178:179], v[180:181], -v[178:179]
	v_add_f64 v[176:177], v[182:183], v[184:185]
	v_add_f64 v[180:181], v[182:183], -v[184:185]
	ds_write_b128 v199, v[162:165]
	ds_write_b128 v199, v[138:141] offset:576
	ds_write_b128 v199, v[174:177] offset:1152
	;; [unrolled: 1-line block ×5, first 2 shown]
	s_waitcnt lgkmcnt(0)
	s_barrier
	global_load_dwordx4 v[160:163], v[124:125], off offset:3360
	global_load_dwordx4 v[164:167], v[124:125], off offset:3376
	;; [unrolled: 1-line block ×4, first 2 shown]
	ds_read_b128 v[120:123], v193 offset:3456
	global_load_dwordx4 v[136:139], v[124:125], off offset:3424
	v_add_co_u32_e32 v168, vcc, s10, v124
	v_addc_co_u32_e32 v169, vcc, 0, v125, vcc
	global_load_dwordx4 v[152:155], v[168:169], off offset:3360
	global_load_dwordx4 v[156:159], v[168:169], off offset:3376
	;; [unrolled: 1-line block ×3, first 2 shown]
	s_movk_i32 s10, 0x5000
	s_waitcnt vmcnt(7) lgkmcnt(0)
	v_mul_f64 v[126:127], v[122:123], v[162:163]
	v_fma_f64 v[180:181], v[120:121], v[160:161], -v[126:127]
	v_mul_f64 v[120:121], v[120:121], v[162:163]
	v_fma_f64 v[182:183], v[122:123], v[160:161], v[120:121]
	ds_read_b128 v[120:123], v193 offset:6912
	s_waitcnt vmcnt(6) lgkmcnt(0)
	v_mul_f64 v[126:127], v[122:123], v[166:167]
	v_fma_f64 v[184:185], v[120:121], v[164:165], -v[126:127]
	v_mul_f64 v[120:121], v[120:121], v[166:167]
	v_fma_f64 v[186:187], v[122:123], v[164:165], v[120:121]
	ds_read_b128 v[120:123], v193 offset:10368
	;; [unrolled: 6-line block ×7, first 2 shown]
	s_waitcnt vmcnt(0) lgkmcnt(0)
	v_mul_f64 v[124:125], v[122:123], v[150:151]
	v_fma_f64 v[222:223], v[120:121], v[148:149], -v[124:125]
	v_mul_f64 v[120:121], v[120:121], v[150:151]
	ds_read_b128 v[124:127], v193 offset:15552
	v_fma_f64 v[224:225], v[122:123], v[148:149], v[120:121]
	global_load_dwordx4 v[120:123], v[168:169], off offset:3408
	s_waitcnt vmcnt(0) lgkmcnt(0)
	v_mul_f64 v[170:171], v[126:127], v[122:123]
	v_fma_f64 v[226:227], v[124:125], v[120:121], -v[170:171]
	v_mul_f64 v[124:125], v[124:125], v[122:123]
	v_fma_f64 v[228:229], v[126:127], v[120:121], v[124:125]
	global_load_dwordx4 v[124:127], v[168:169], off offset:3424
	ds_read_b128 v[168:171], v193 offset:19008
	s_waitcnt vmcnt(0) lgkmcnt(0)
	v_mul_f64 v[176:177], v[170:171], v[126:127]
	v_fma_f64 v[230:231], v[168:169], v[124:125], -v[176:177]
	v_mul_f64 v[168:169], v[168:169], v[126:127]
	v_add_f64 v[176:177], v[184:185], v[204:205]
	v_fma_f64 v[232:233], v[170:171], v[124:125], v[168:169]
	ds_read_b128 v[168:171], v193
	s_waitcnt lgkmcnt(0)
	v_fma_f64 v[212:213], v[176:177], -0.5, v[168:169]
	v_add_f64 v[176:177], v[186:187], v[206:207]
	v_add_f64 v[168:169], v[168:169], v[184:185]
	v_fma_f64 v[214:215], v[176:177], -0.5, v[170:171]
	v_add_f64 v[176:177], v[180:181], v[190:191]
	v_add_f64 v[168:169], v[168:169], v[204:205]
	;; [unrolled: 1-line block ×3, first 2 shown]
	v_add_f64 v[204:205], v[184:185], -v[204:205]
	v_add_f64 v[216:217], v[176:177], v[208:209]
	v_add_f64 v[176:177], v[182:183], v[202:203]
	;; [unrolled: 1-line block ×3, first 2 shown]
	v_add_f64 v[206:207], v[186:187], -v[206:207]
	v_add_f64 v[234:235], v[176:177], v[210:211]
	v_add_f64 v[176:177], v[168:169], v[216:217]
	v_add_f64 v[168:169], v[168:169], -v[216:217]
	v_add_f64 v[216:217], v[202:203], v[210:211]
	v_add_f64 v[202:203], v[202:203], -v[210:211]
	v_fma_f64 v[210:211], v[206:207], s[6:7], v[212:213]
	v_fma_f64 v[206:207], v[206:207], s[8:9], v[212:213]
	v_add_f64 v[178:179], v[170:171], v[234:235]
	v_add_f64 v[170:171], v[170:171], -v[234:235]
	v_fma_f64 v[234:235], v[204:205], s[8:9], v[214:215]
	v_fma_f64 v[216:217], v[216:217], -0.5, v[182:183]
	v_add_f64 v[182:183], v[190:191], v[208:209]
	v_add_f64 v[190:191], v[190:191], -v[208:209]
	v_fma_f64 v[208:209], v[182:183], -0.5, v[180:181]
	v_fma_f64 v[180:181], v[190:191], s[8:9], v[216:217]
	v_fma_f64 v[190:191], v[190:191], s[6:7], v[216:217]
	;; [unrolled: 1-line block ×3, first 2 shown]
	v_mul_f64 v[184:185], v[180:181], s[6:7]
	v_fma_f64 v[202:203], v[202:203], s[8:9], v[208:209]
	v_fma_f64 v[208:209], v[204:205], s[6:7], v[214:215]
	v_add_f64 v[214:215], v[220:221], v[228:229]
	v_fma_f64 v[184:185], v[182:183], 0.5, v[184:185]
	v_mul_f64 v[182:183], v[182:183], s[8:9]
	v_mul_f64 v[204:205], v[202:203], -0.5
	v_fma_f64 v[186:187], v[180:181], 0.5, v[182:183]
	v_add_f64 v[180:181], v[210:211], v[184:185]
	v_add_f64 v[184:185], v[210:211], -v[184:185]
	v_fma_f64 v[210:211], v[190:191], s[6:7], v[204:205]
	v_mul_f64 v[190:191], v[190:191], -0.5
	v_add_f64 v[182:183], v[234:235], v[186:187]
	v_add_f64 v[186:187], v[234:235], -v[186:187]
	v_fma_f64 v[190:191], v[202:203], s[8:9], v[190:191]
	v_add_f64 v[202:203], v[206:207], v[210:211]
	v_add_f64 v[206:207], v[206:207], -v[210:211]
	ds_read_b128 v[210:213], v193 offset:1728
	v_add_f64 v[204:205], v[208:209], v[190:191]
	v_add_f64 v[208:209], v[208:209], -v[190:191]
	v_add_f64 v[190:191], v[218:219], v[226:227]
	s_waitcnt lgkmcnt(0)
	v_fma_f64 v[234:235], v[214:215], -0.5, v[212:213]
	v_add_f64 v[212:213], v[212:213], v[220:221]
	v_fma_f64 v[190:191], v[190:191], -0.5, v[210:211]
	v_add_f64 v[210:211], v[210:211], v[218:219]
	v_add_f64 v[216:217], v[212:213], v[228:229]
	v_add_f64 v[228:229], v[220:221], -v[228:229]
	v_add_f64 v[214:215], v[210:211], v[226:227]
	v_add_f64 v[210:211], v[172:173], v[222:223]
	v_add_f64 v[226:227], v[218:219], -v[226:227]
	v_add_f64 v[236:237], v[210:211], v[230:231]
	v_add_f64 v[210:211], v[174:175], v[224:225]
	;; [unrolled: 1-line block ×4, first 2 shown]
	v_add_f64 v[214:215], v[214:215], -v[236:237]
	v_add_f64 v[236:237], v[224:225], v[232:233]
	v_add_f64 v[224:225], v[224:225], -v[232:233]
	v_fma_f64 v[232:233], v[228:229], s[6:7], v[190:191]
	v_fma_f64 v[190:191], v[228:229], s[8:9], v[190:191]
	;; [unrolled: 1-line block ×3, first 2 shown]
	v_add_f64 v[212:213], v[216:217], v[238:239]
	v_add_f64 v[216:217], v[216:217], -v[238:239]
	v_fma_f64 v[238:239], v[226:227], s[8:9], v[234:235]
	v_fma_f64 v[236:237], v[236:237], -0.5, v[174:175]
	v_add_f64 v[174:175], v[222:223], v[230:231]
	v_add_f64 v[222:223], v[222:223], -v[230:231]
	v_fma_f64 v[230:231], v[174:175], -0.5, v[172:173]
	v_fma_f64 v[172:173], v[222:223], s[8:9], v[236:237]
	v_fma_f64 v[222:223], v[222:223], s[6:7], v[236:237]
	;; [unrolled: 1-line block ×4, first 2 shown]
	v_mul_f64 v[218:219], v[172:173], s[6:7]
	v_mul_f64 v[226:227], v[224:225], -0.5
	v_fma_f64 v[218:219], v[174:175], 0.5, v[218:219]
	v_mul_f64 v[174:175], v[174:175], s[8:9]
	v_fma_f64 v[226:227], v[222:223], s[6:7], v[226:227]
	v_mul_f64 v[222:223], v[222:223], -0.5
	v_fma_f64 v[220:221], v[172:173], 0.5, v[174:175]
	v_add_f64 v[172:173], v[232:233], v[218:219]
	v_add_f64 v[218:219], v[232:233], -v[218:219]
	v_fma_f64 v[230:231], v[224:225], s[8:9], v[222:223]
	v_add_f64 v[174:175], v[238:239], v[220:221]
	v_add_f64 v[220:221], v[238:239], -v[220:221]
	v_add_f64 v[222:223], v[190:191], v[226:227]
	v_add_f64 v[226:227], v[190:191], -v[226:227]
	;; [unrolled: 2-line block ×3, first 2 shown]
	ds_write_b128 v193, v[176:179]
	ds_write_b128 v193, v[180:183] offset:3456
	ds_write_b128 v193, v[202:205] offset:6912
	;; [unrolled: 1-line block ×11, first 2 shown]
	v_add_co_u32_e32 v168, vcc, s10, v188
	v_addc_co_u32_e32 v169, vcc, 0, v189, vcc
	s_waitcnt lgkmcnt(0)
	s_barrier
	global_load_dwordx4 v[170:173], v[168:169], off offset:256
	ds_read_b128 v[174:177], v193
	ds_read_b128 v[178:181], v193 offset:3456
	s_movk_i32 s10, 0x5100
	v_add_co_u32_e32 v206, vcc, s10, v188
	v_addc_co_u32_e32 v207, vcc, 0, v189, vcc
	s_movk_i32 s10, 0x6000
	v_add_co_u32_e32 v210, vcc, s10, v188
	v_addc_co_u32_e32 v211, vcc, 0, v189, vcc
	ds_read_b128 v[182:185], v193 offset:6912
	ds_read_b128 v[202:205], v193 offset:10368
	s_movk_i32 s10, 0x7000
	v_add_co_u32_e32 v216, vcc, s10, v188
	v_addc_co_u32_e32 v217, vcc, 0, v189, vcc
	s_mov_b32 s10, 0x8000
	v_add_co_u32_e32 v228, vcc, s10, v188
	v_addc_co_u32_e32 v229, vcc, 0, v189, vcc
	s_mov_b32 s10, 0x9000
	v_add_co_u32_e32 v234, vcc, s10, v188
	v_addc_co_u32_e32 v235, vcc, 0, v189, vcc
	ds_read_b128 v[224:227], v193 offset:12096
	ds_read_b128 v[230:233], v193 offset:15552
	;; [unrolled: 1-line block ×3, first 2 shown]
	s_waitcnt vmcnt(0) lgkmcnt(6)
	v_mul_f64 v[168:169], v[176:177], v[172:173]
	v_mul_f64 v[172:173], v[174:175], v[172:173]
	v_fma_f64 v[168:169], v[174:175], v[170:171], -v[168:169]
	v_fma_f64 v[170:171], v[176:177], v[170:171], v[172:173]
	global_load_dwordx4 v[174:177], v[206:207], off offset:3456
	s_waitcnt vmcnt(0) lgkmcnt(5)
	v_mul_f64 v[172:173], v[180:181], v[176:177]
	v_mul_f64 v[176:177], v[178:179], v[176:177]
	v_fma_f64 v[172:173], v[178:179], v[174:175], -v[172:173]
	v_fma_f64 v[174:175], v[180:181], v[174:175], v[176:177]
	global_load_dwordx4 v[178:181], v[210:211], off offset:3072
	;; [unrolled: 6-line block ×4, first 2 shown]
	ds_read_b128 v[184:187], v193 offset:13824
	s_waitcnt vmcnt(0) lgkmcnt(0)
	v_mul_f64 v[190:191], v[186:187], v[204:205]
	v_mul_f64 v[204:205], v[184:185], v[204:205]
	v_fma_f64 v[184:185], v[184:185], v[202:203], -v[190:191]
	v_fma_f64 v[186:187], v[186:187], v[202:203], v[204:205]
	global_load_dwordx4 v[202:205], v[234:235], off offset:1152
	ds_read_b128 v[188:191], v193 offset:17280
	s_waitcnt vmcnt(0) lgkmcnt(0)
	v_mul_f64 v[208:209], v[190:191], v[204:205]
	v_mul_f64 v[204:205], v[188:189], v[204:205]
	v_fma_f64 v[188:189], v[188:189], v[202:203], -v[208:209]
	v_fma_f64 v[190:191], v[190:191], v[202:203], v[204:205]
	global_load_dwordx4 v[202:205], v[206:207], off offset:1728
	;; [unrolled: 7-line block ×5, first 2 shown]
	s_waitcnt vmcnt(0)
	v_mul_f64 v[202:203], v[226:227], v[222:223]
	v_mul_f64 v[208:209], v[224:225], v[222:223]
	v_fma_f64 v[222:223], v[224:225], v[220:221], -v[202:203]
	v_fma_f64 v[224:225], v[226:227], v[220:221], v[208:209]
	global_load_dwordx4 v[226:229], v[228:229], off offset:3520
	s_waitcnt vmcnt(0)
	v_mul_f64 v[202:203], v[232:233], v[228:229]
	v_mul_f64 v[208:209], v[230:231], v[228:229]
	v_fma_f64 v[228:229], v[230:231], v[226:227], -v[202:203]
	v_fma_f64 v[230:231], v[232:233], v[226:227], v[208:209]
	global_load_dwordx4 v[232:235], v[234:235], off offset:2880
	s_waitcnt vmcnt(0)
	v_mul_f64 v[202:203], v[238:239], v[234:235]
	v_mul_f64 v[208:209], v[236:237], v[234:235]
	v_fma_f64 v[234:235], v[236:237], v[232:233], -v[202:203]
	v_fma_f64 v[236:237], v[238:239], v[232:233], v[208:209]
	ds_write_b128 v193, v[168:171]
	ds_write_b128 v193, v[172:175] offset:3456
	ds_write_b128 v193, v[176:179] offset:6912
	;; [unrolled: 1-line block ×11, first 2 shown]
	s_waitcnt lgkmcnt(0)
	s_barrier
	ds_read_b128 v[168:171], v193
	ds_read_b128 v[172:175], v193 offset:6912
	ds_read_b128 v[176:179], v193 offset:13824
	s_waitcnt lgkmcnt(1)
	v_add_f64 v[180:181], v[168:169], v[172:173]
	v_add_f64 v[182:183], v[170:171], v[174:175]
	s_waitcnt lgkmcnt(0)
	v_add_f64 v[184:185], v[172:173], v[176:177]
	v_add_f64 v[186:187], v[174:175], -v[178:179]
	v_add_f64 v[188:189], v[174:175], v[178:179]
	v_add_f64 v[190:191], v[172:173], -v[176:177]
	v_add_f64 v[202:203], v[180:181], v[176:177]
	v_add_f64 v[204:205], v[182:183], v[178:179]
	ds_read_b128 v[172:175], v193 offset:3456
	ds_read_b128 v[176:179], v193 offset:10368
	;; [unrolled: 1-line block ×3, first 2 shown]
	v_fma_f64 v[184:185], v[184:185], -0.5, v[168:169]
	v_fma_f64 v[188:189], v[188:189], -0.5, v[170:171]
	s_waitcnt lgkmcnt(1)
	v_add_f64 v[206:207], v[172:173], v[176:177]
	s_waitcnt lgkmcnt(0)
	v_add_f64 v[210:211], v[178:179], v[182:183]
	v_add_f64 v[208:209], v[174:175], v[178:179]
	;; [unrolled: 1-line block ×3, first 2 shown]
	v_add_f64 v[216:217], v[176:177], -v[180:181]
	v_add_f64 v[214:215], v[178:179], -v[182:183]
	v_add_f64 v[176:177], v[206:207], v[180:181]
	v_fma_f64 v[206:207], v[210:211], -0.5, v[174:175]
	v_add_f64 v[178:179], v[208:209], v[182:183]
	v_fma_f64 v[208:209], v[212:213], -0.5, v[172:173]
	v_add_f64 v[168:169], v[202:203], v[176:177]
	v_add_f64 v[172:173], v[202:203], -v[176:177]
	v_fma_f64 v[176:177], v[216:217], s[6:7], v[206:207]
	v_add_f64 v[170:171], v[204:205], v[178:179]
	v_add_f64 v[174:175], v[204:205], -v[178:179]
	v_fma_f64 v[180:181], v[214:215], s[8:9], v[208:209]
	v_fma_f64 v[204:205], v[190:191], s[6:7], v[188:189]
	;; [unrolled: 1-line block ×3, first 2 shown]
	v_mul_f64 v[178:179], v[176:177], s[8:9]
	v_mul_f64 v[176:177], v[176:177], 0.5
	v_fma_f64 v[182:183], v[180:181], 0.5, v[178:179]
	v_fma_f64 v[202:203], v[180:181], s[6:7], v[176:177]
	v_fma_f64 v[180:181], v[186:187], s[8:9], v[184:185]
	v_add_f64 v[178:179], v[204:205], v[202:203]
	v_add_f64 v[176:177], v[180:181], v[182:183]
	v_add_f64 v[180:181], v[180:181], -v[182:183]
	v_add_f64 v[182:183], v[204:205], -v[202:203]
	v_fma_f64 v[202:203], v[216:217], s[8:9], v[206:207]
	v_fma_f64 v[204:205], v[186:187], s[6:7], v[184:185]
	;; [unrolled: 1-line block ×3, first 2 shown]
	v_mul_f64 v[186:187], v[202:203], s[8:9]
	v_mul_f64 v[188:189], v[202:203], -0.5
	v_fma_f64 v[202:203], v[184:185], -0.5, v[186:187]
	v_fma_f64 v[206:207], v[184:185], s[6:7], v[188:189]
	v_add_f64 v[184:185], v[204:205], v[202:203]
	v_add_f64 v[186:187], v[190:191], v[206:207]
	v_add_f64 v[188:189], v[204:205], -v[202:203]
	v_add_f64 v[190:191], v[190:191], -v[206:207]
	ds_read_b128 v[202:205], v193 offset:1728
	ds_read_b128 v[206:209], v193 offset:5184
	;; [unrolled: 1-line block ×6, first 2 shown]
	s_waitcnt lgkmcnt(0)
	s_barrier
	ds_write_b128 v198, v[168:171]
	ds_write_b128 v198, v[176:179] offset:16
	ds_write_b128 v198, v[184:187] offset:32
	;; [unrolled: 1-line block ×5, first 2 shown]
	v_add_f64 v[168:169], v[202:203], v[210:211]
	v_add_f64 v[170:171], v[204:205], v[212:213]
	;; [unrolled: 1-line block ×4, first 2 shown]
	v_add_f64 v[186:187], v[210:211], -v[218:219]
	v_add_f64 v[182:183], v[214:215], v[222:223]
	v_add_f64 v[190:191], v[214:215], -v[222:223]
	v_add_f64 v[184:185], v[212:213], -v[220:221]
	v_add_f64 v[176:177], v[168:169], v[218:219]
	v_add_f64 v[168:169], v[206:207], v[214:215]
	;; [unrolled: 1-line block ×4, first 2 shown]
	v_fma_f64 v[208:209], v[180:181], -0.5, v[208:209]
	v_add_f64 v[174:175], v[212:213], v[220:221]
	v_add_f64 v[188:189], v[216:217], -v[224:225]
	v_fma_f64 v[202:203], v[172:173], -0.5, v[202:203]
	v_fma_f64 v[206:207], v[182:183], -0.5, v[206:207]
	v_add_f64 v[210:211], v[168:169], v[222:223]
	v_add_f64 v[212:213], v[170:171], v[224:225]
	v_fma_f64 v[204:205], v[174:175], -0.5, v[204:205]
	v_fma_f64 v[180:181], v[188:189], s[8:9], v[206:207]
	v_add_f64 v[168:169], v[176:177], v[210:211]
	v_add_f64 v[172:173], v[176:177], -v[210:211]
	v_fma_f64 v[176:177], v[190:191], s[6:7], v[208:209]
	v_add_f64 v[170:171], v[178:179], v[212:213]
	v_add_f64 v[174:175], v[178:179], -v[212:213]
	v_fma_f64 v[190:191], v[190:191], s[8:9], v[208:209]
	v_fma_f64 v[212:213], v[186:187], s[6:7], v[204:205]
	;; [unrolled: 1-line block ×3, first 2 shown]
	v_mul_f64 v[178:179], v[176:177], s[8:9]
	v_mul_f64 v[176:177], v[176:177], 0.5
	v_mul_f64 v[186:187], v[190:191], s[8:9]
	v_fma_f64 v[182:183], v[180:181], 0.5, v[178:179]
	v_fma_f64 v[210:211], v[180:181], s[6:7], v[176:177]
	v_fma_f64 v[180:181], v[184:185], s[8:9], v[202:203]
	;; [unrolled: 1-line block ×4, first 2 shown]
	v_mul_f64 v[188:189], v[190:191], -0.5
	v_add_f64 v[178:179], v[212:213], v[210:211]
	v_add_f64 v[176:177], v[180:181], v[182:183]
	v_add_f64 v[180:181], v[180:181], -v[182:183]
	v_fma_f64 v[190:191], v[184:185], -0.5, v[186:187]
	v_fma_f64 v[206:207], v[184:185], s[6:7], v[188:189]
	v_add_f64 v[182:183], v[212:213], -v[210:211]
	v_add_f64 v[184:185], v[202:203], v[190:191]
	v_add_f64 v[186:187], v[204:205], v[206:207]
	v_add_f64 v[188:189], v[202:203], -v[190:191]
	v_add_f64 v[190:191], v[204:205], -v[206:207]
	ds_write_b128 v196, v[168:171]
	ds_write_b128 v196, v[176:179] offset:16
	ds_write_b128 v196, v[184:187] offset:32
	;; [unrolled: 1-line block ×5, first 2 shown]
	s_waitcnt lgkmcnt(0)
	s_barrier
	ds_read_b128 v[168:171], v193 offset:3456
	s_waitcnt lgkmcnt(0)
	v_mul_f64 v[172:173], v[70:71], v[170:171]
	v_mul_f64 v[70:71], v[70:71], v[168:169]
	v_fma_f64 v[172:173], v[68:69], v[168:169], v[172:173]
	v_fma_f64 v[168:169], v[68:69], v[170:171], -v[70:71]
	ds_read_b128 v[68:71], v193 offset:6912
	s_waitcnt lgkmcnt(0)
	v_mul_f64 v[170:171], v[62:63], v[70:71]
	v_mul_f64 v[62:63], v[62:63], v[68:69]
	v_fma_f64 v[170:171], v[60:61], v[68:69], v[170:171]
	v_fma_f64 v[174:175], v[60:61], v[70:71], -v[62:63]
	;; [unrolled: 6-line block ×4, first 2 shown]
	ds_read_b128 v[52:55], v193 offset:17280
	ds_read_b128 v[60:63], v193 offset:12096
	s_waitcnt lgkmcnt(1)
	v_mul_f64 v[56:57], v[50:51], v[54:55]
	v_mul_f64 v[50:51], v[50:51], v[52:53]
	v_fma_f64 v[184:185], v[48:49], v[52:53], v[56:57]
	v_fma_f64 v[186:187], v[48:49], v[54:55], -v[50:51]
	ds_read_b128 v[50:53], v193 offset:5184
	ds_read_b128 v[54:57], v193 offset:8640
	s_waitcnt lgkmcnt(1)
	v_mul_f64 v[48:49], v[66:67], v[52:53]
	v_fma_f64 v[48:49], v[64:65], v[50:51], v[48:49]
	v_mul_f64 v[50:51], v[66:67], v[50:51]
	v_fma_f64 v[50:51], v[64:65], v[52:53], -v[50:51]
	s_waitcnt lgkmcnt(0)
	v_mul_f64 v[52:53], v[86:87], v[56:57]
	v_fma_f64 v[52:53], v[84:85], v[54:55], v[52:53]
	v_mul_f64 v[54:55], v[86:87], v[54:55]
	v_add_f64 v[86:87], v[176:177], -v[184:185]
	v_fma_f64 v[54:55], v[84:85], v[56:57], -v[54:55]
	v_mul_f64 v[56:57], v[82:83], v[62:63]
	v_fma_f64 v[58:59], v[80:81], v[60:61], v[56:57]
	v_mul_f64 v[56:57], v[82:83], v[60:61]
	v_fma_f64 v[56:57], v[80:81], v[62:63], -v[56:57]
	ds_read_b128 v[62:65], v193 offset:15552
	s_waitcnt lgkmcnt(0)
	v_mul_f64 v[60:61], v[78:79], v[64:65]
	v_fma_f64 v[60:61], v[76:77], v[62:63], v[60:61]
	v_mul_f64 v[62:63], v[78:79], v[62:63]
	v_fma_f64 v[62:63], v[76:77], v[64:65], -v[62:63]
	ds_read_b128 v[64:67], v193 offset:19008
	s_waitcnt lgkmcnt(0)
	v_mul_f64 v[68:69], v[74:75], v[66:67]
	v_fma_f64 v[188:189], v[72:73], v[64:65], v[68:69]
	v_mul_f64 v[64:65], v[74:75], v[64:65]
	v_add_f64 v[68:69], v[170:171], v[180:181]
	v_fma_f64 v[190:191], v[72:73], v[66:67], -v[64:65]
	ds_read_b128 v[64:67], v193
	s_waitcnt lgkmcnt(0)
	v_fma_f64 v[80:81], v[68:69], -0.5, v[64:65]
	v_add_f64 v[68:69], v[174:175], v[182:183]
	v_add_f64 v[64:65], v[64:65], v[170:171]
	v_add_f64 v[170:171], v[170:171], -v[180:181]
	v_fma_f64 v[82:83], v[68:69], -0.5, v[66:67]
	v_add_f64 v[68:69], v[64:65], v[180:181]
	v_add_f64 v[64:65], v[172:173], v[176:177]
	;; [unrolled: 1-line block ×8, first 2 shown]
	v_add_f64 v[68:69], v[68:69], -v[72:73]
	v_add_f64 v[72:73], v[178:179], v[186:187]
	v_add_f64 v[66:67], v[70:71], v[74:75]
	v_add_f64 v[70:71], v[70:71], -v[74:75]
	v_fma_f64 v[84:85], v[72:73], -0.5, v[168:169]
	v_add_f64 v[72:73], v[176:177], v[184:185]
	v_add_f64 v[168:169], v[174:175], -v[182:183]
	v_add_f64 v[174:175], v[178:179], -v[186:187]
	v_fma_f64 v[178:179], v[170:171], s[6:7], v[82:83]
	v_fma_f64 v[172:173], v[72:73], -0.5, v[172:173]
	v_fma_f64 v[72:73], v[86:87], s[6:7], v[84:85]
	v_fma_f64 v[84:85], v[86:87], s[8:9], v[84:85]
	;; [unrolled: 1-line block ×4, first 2 shown]
	v_mul_f64 v[74:75], v[72:73], s[8:9]
	v_mul_f64 v[72:73], v[72:73], 0.5
	v_fma_f64 v[78:79], v[76:77], 0.5, v[74:75]
	v_fma_f64 v[176:177], v[76:77], s[6:7], v[72:73]
	v_fma_f64 v[76:77], v[168:169], s[8:9], v[80:81]
	;; [unrolled: 1-line block ×4, first 2 shown]
	v_mul_f64 v[82:83], v[84:85], s[8:9]
	v_mul_f64 v[84:85], v[84:85], -0.5
	v_add_f64 v[74:75], v[178:179], v[176:177]
	v_add_f64 v[72:73], v[76:77], v[78:79]
	v_add_f64 v[76:77], v[76:77], -v[78:79]
	v_add_f64 v[78:79], v[178:179], -v[176:177]
	v_fma_f64 v[170:171], v[80:81], -0.5, v[82:83]
	v_fma_f64 v[172:173], v[80:81], s[6:7], v[84:85]
	v_add_f64 v[80:81], v[86:87], v[170:171]
	v_add_f64 v[82:83], v[168:169], v[172:173]
	v_add_f64 v[84:85], v[86:87], -v[170:171]
	v_add_f64 v[86:87], v[168:169], -v[172:173]
	ds_read_b128 v[168:171], v193 offset:1728
	s_waitcnt lgkmcnt(0)
	s_barrier
	ds_write_b128 v200, v[64:67]
	ds_write_b128 v200, v[72:75] offset:96
	ds_write_b128 v200, v[80:83] offset:192
	;; [unrolled: 1-line block ×5, first 2 shown]
	v_add_f64 v[64:65], v[52:53], v[60:61]
	v_add_f64 v[66:67], v[170:171], v[54:55]
	v_fma_f64 v[72:73], v[64:65], -0.5, v[168:169]
	v_add_f64 v[64:65], v[54:55], v[62:63]
	v_add_f64 v[70:71], v[66:67], v[62:63]
	v_add_f64 v[62:63], v[54:55], -v[62:63]
	v_fma_f64 v[74:75], v[64:65], -0.5, v[170:171]
	v_add_f64 v[64:65], v[168:169], v[52:53]
	v_add_f64 v[68:69], v[64:65], v[60:61]
	;; [unrolled: 1-line block ×3, first 2 shown]
	v_add_f64 v[60:61], v[52:53], -v[60:61]
	v_add_f64 v[76:77], v[64:65], v[188:189]
	v_add_f64 v[64:65], v[50:51], v[56:57]
	v_fma_f64 v[82:83], v[60:61], s[6:7], v[74:75]
	v_add_f64 v[78:79], v[64:65], v[190:191]
	v_add_f64 v[64:65], v[68:69], v[76:77]
	v_add_f64 v[68:69], v[68:69], -v[76:77]
	v_add_f64 v[76:77], v[56:57], v[190:191]
	v_add_f64 v[56:57], v[56:57], -v[190:191]
	;; [unrolled: 2-line block ×3, first 2 shown]
	v_fma_f64 v[76:77], v[76:77], -0.5, v[50:51]
	v_add_f64 v[50:51], v[58:59], v[188:189]
	v_add_f64 v[58:59], v[58:59], -v[188:189]
	v_fma_f64 v[78:79], v[50:51], -0.5, v[48:49]
	v_fma_f64 v[48:49], v[58:59], s[6:7], v[76:77]
	v_fma_f64 v[58:59], v[58:59], s[8:9], v[76:77]
	;; [unrolled: 1-line block ×3, first 2 shown]
	v_mul_f64 v[50:51], v[48:49], s[8:9]
	v_mul_f64 v[48:49], v[48:49], 0.5
	v_fma_f64 v[56:57], v[56:57], s[6:7], v[78:79]
	v_fma_f64 v[54:55], v[52:53], 0.5, v[50:51]
	v_fma_f64 v[80:81], v[52:53], s[6:7], v[48:49]
	v_fma_f64 v[52:53], v[62:63], s[8:9], v[72:73]
	;; [unrolled: 1-line block ×4, first 2 shown]
	v_mul_f64 v[60:61], v[58:59], s[8:9]
	v_mul_f64 v[58:59], v[58:59], -0.5
	v_add_f64 v[50:51], v[82:83], v[80:81]
	v_add_f64 v[48:49], v[52:53], v[54:55]
	v_add_f64 v[52:53], v[52:53], -v[54:55]
	v_add_f64 v[54:55], v[82:83], -v[80:81]
	v_fma_f64 v[60:61], v[56:57], -0.5, v[60:61]
	v_fma_f64 v[74:75], v[56:57], s[6:7], v[58:59]
	v_add_f64 v[56:57], v[62:63], v[60:61]
	v_add_f64 v[58:59], v[72:73], v[74:75]
	v_add_f64 v[60:61], v[62:63], -v[60:61]
	v_add_f64 v[62:63], v[72:73], -v[74:75]
	ds_write_b128 v197, v[64:67]
	ds_write_b128 v197, v[48:51] offset:96
	ds_write_b128 v197, v[56:59] offset:192
	;; [unrolled: 1-line block ×5, first 2 shown]
	s_waitcnt lgkmcnt(0)
	s_barrier
	ds_read_b128 v[48:51], v193 offset:3456
	ds_read_b128 v[54:57], v193 offset:8640
	;; [unrolled: 1-line block ×3, first 2 shown]
	s_waitcnt lgkmcnt(2)
	v_mul_f64 v[52:53], v[134:135], v[50:51]
	v_fma_f64 v[74:75], v[132:133], v[48:49], v[52:53]
	v_mul_f64 v[48:49], v[134:135], v[48:49]
	v_fma_f64 v[76:77], v[132:133], v[50:51], -v[48:49]
	ds_read_b128 v[48:51], v193 offset:6912
	s_waitcnt lgkmcnt(0)
	v_mul_f64 v[52:53], v[90:91], v[50:51]
	v_fma_f64 v[78:79], v[88:89], v[48:49], v[52:53]
	v_mul_f64 v[48:49], v[90:91], v[48:49]
	v_fma_f64 v[80:81], v[88:89], v[50:51], -v[48:49]
	ds_read_b128 v[48:51], v193 offset:10368
	;; [unrolled: 6-line block ×3, first 2 shown]
	s_waitcnt lgkmcnt(0)
	v_mul_f64 v[52:53], v[98:99], v[50:51]
	v_fma_f64 v[86:87], v[96:97], v[48:49], v[52:53]
	v_mul_f64 v[48:49], v[98:99], v[48:49]
	v_add_f64 v[70:71], v[78:79], v[86:87]
	v_fma_f64 v[88:89], v[96:97], v[50:51], -v[48:49]
	ds_read_b128 v[48:51], v193 offset:17280
	s_waitcnt lgkmcnt(0)
	v_mul_f64 v[52:53], v[102:103], v[50:51]
	v_fma_f64 v[90:91], v[100:101], v[48:49], v[52:53]
	v_mul_f64 v[48:49], v[102:103], v[48:49]
	v_fma_f64 v[92:93], v[100:101], v[50:51], -v[48:49]
	ds_read_b128 v[50:53], v193 offset:5184
	s_waitcnt lgkmcnt(0)
	v_mul_f64 v[48:49], v[106:107], v[52:53]
	v_fma_f64 v[48:49], v[104:105], v[50:51], v[48:49]
	v_mul_f64 v[50:51], v[106:107], v[50:51]
	v_fma_f64 v[50:51], v[104:105], v[52:53], -v[50:51]
	v_mul_f64 v[52:53], v[130:131], v[56:57]
	v_fma_f64 v[52:53], v[128:129], v[54:55], v[52:53]
	v_mul_f64 v[54:55], v[130:131], v[54:55]
	v_fma_f64 v[54:55], v[128:129], v[56:57], -v[54:55]
	;; [unrolled: 4-line block ×3, first 2 shown]
	ds_read_b128 v[62:65], v193 offset:15552
	s_waitcnt lgkmcnt(0)
	v_mul_f64 v[60:61], v[114:115], v[64:65]
	v_fma_f64 v[60:61], v[112:113], v[62:63], v[60:61]
	v_mul_f64 v[62:63], v[114:115], v[62:63]
	v_fma_f64 v[62:63], v[112:113], v[64:65], -v[62:63]
	ds_read_b128 v[64:67], v193 offset:19008
	s_waitcnt lgkmcnt(0)
	v_mul_f64 v[68:69], v[110:111], v[66:67]
	v_fma_f64 v[94:95], v[108:109], v[64:65], v[68:69]
	v_mul_f64 v[64:65], v[110:111], v[64:65]
	v_fma_f64 v[64:65], v[108:109], v[66:67], -v[64:65]
	ds_read_b128 v[66:69], v193
	s_waitcnt lgkmcnt(0)
	v_fma_f64 v[96:97], v[70:71], -0.5, v[66:67]
	v_add_f64 v[70:71], v[80:81], v[88:89]
	v_add_f64 v[66:67], v[66:67], v[78:79]
	v_fma_f64 v[98:99], v[70:71], -0.5, v[68:69]
	v_add_f64 v[70:71], v[66:67], v[86:87]
	v_add_f64 v[66:67], v[74:75], v[82:83]
	;; [unrolled: 1-line block ×3, first 2 shown]
	v_add_f64 v[86:87], v[78:79], -v[86:87]
	v_add_f64 v[100:101], v[66:67], v[90:91]
	v_add_f64 v[66:67], v[76:77], v[84:85]
	;; [unrolled: 1-line block ×3, first 2 shown]
	v_add_f64 v[88:89], v[80:81], -v[88:89]
	v_add_f64 v[102:103], v[66:67], v[92:93]
	v_add_f64 v[66:67], v[70:71], v[100:101]
	v_add_f64 v[70:71], v[70:71], -v[100:101]
	v_add_f64 v[100:101], v[84:85], v[92:93]
	v_add_f64 v[84:85], v[84:85], -v[92:93]
	;; [unrolled: 2-line block ×3, first 2 shown]
	v_fma_f64 v[102:103], v[86:87], s[6:7], v[98:99]
	v_fma_f64 v[100:101], v[100:101], -0.5, v[76:77]
	v_add_f64 v[76:77], v[82:83], v[90:91]
	v_add_f64 v[82:83], v[82:83], -v[90:91]
	v_fma_f64 v[90:91], v[76:77], -0.5, v[74:75]
	v_fma_f64 v[74:75], v[82:83], s[6:7], v[100:101]
	v_fma_f64 v[82:83], v[82:83], s[8:9], v[100:101]
	;; [unrolled: 1-line block ×3, first 2 shown]
	v_mul_f64 v[76:77], v[74:75], s[8:9]
	v_mul_f64 v[74:75], v[74:75], 0.5
	v_fma_f64 v[84:85], v[84:85], s[6:7], v[90:91]
	v_fma_f64 v[80:81], v[78:79], 0.5, v[76:77]
	v_fma_f64 v[92:93], v[78:79], s[6:7], v[74:75]
	v_fma_f64 v[78:79], v[88:89], s[8:9], v[96:97]
	;; [unrolled: 1-line block ×3, first 2 shown]
	v_add_f64 v[76:77], v[102:103], v[92:93]
	v_add_f64 v[74:75], v[78:79], v[80:81]
	v_add_f64 v[78:79], v[78:79], -v[80:81]
	v_add_f64 v[80:81], v[102:103], -v[92:93]
	v_fma_f64 v[92:93], v[86:87], s[8:9], v[98:99]
	v_mul_f64 v[86:87], v[82:83], s[8:9]
	v_mul_f64 v[82:83], v[82:83], -0.5
	v_fma_f64 v[86:87], v[84:85], -0.5, v[86:87]
	v_fma_f64 v[90:91], v[84:85], s[6:7], v[82:83]
	v_add_f64 v[82:83], v[88:89], v[86:87]
	v_add_f64 v[84:85], v[92:93], v[90:91]
	v_add_f64 v[86:87], v[88:89], -v[86:87]
	v_add_f64 v[88:89], v[92:93], -v[90:91]
	ds_read_b128 v[90:93], v193 offset:1728
	s_waitcnt lgkmcnt(0)
	s_barrier
	ds_write_b128 v201, v[66:69]
	ds_write_b128 v201, v[74:77] offset:576
	ds_write_b128 v201, v[82:85] offset:1152
	;; [unrolled: 1-line block ×5, first 2 shown]
	v_add_f64 v[66:67], v[52:53], v[60:61]
	v_add_f64 v[68:69], v[92:93], v[54:55]
	v_fma_f64 v[74:75], v[66:67], -0.5, v[90:91]
	v_add_f64 v[66:67], v[54:55], v[62:63]
	v_add_f64 v[72:73], v[68:69], v[62:63]
	v_add_f64 v[62:63], v[54:55], -v[62:63]
	v_fma_f64 v[76:77], v[66:67], -0.5, v[92:93]
	v_add_f64 v[66:67], v[90:91], v[52:53]
	v_add_f64 v[70:71], v[66:67], v[60:61]
	;; [unrolled: 1-line block ×3, first 2 shown]
	v_add_f64 v[60:61], v[52:53], -v[60:61]
	v_add_f64 v[78:79], v[66:67], v[94:95]
	v_add_f64 v[66:67], v[50:51], v[56:57]
	v_fma_f64 v[82:83], v[60:61], s[6:7], v[76:77]
	v_add_f64 v[80:81], v[66:67], v[64:65]
	v_add_f64 v[66:67], v[70:71], v[78:79]
	v_add_f64 v[70:71], v[70:71], -v[78:79]
	v_add_f64 v[78:79], v[56:57], v[64:65]
	v_add_f64 v[56:57], v[56:57], -v[64:65]
	;; [unrolled: 2-line block ×3, first 2 shown]
	v_fma_f64 v[78:79], v[78:79], -0.5, v[50:51]
	v_add_f64 v[50:51], v[58:59], v[94:95]
	v_add_f64 v[58:59], v[58:59], -v[94:95]
	v_fma_f64 v[80:81], v[50:51], -0.5, v[48:49]
	v_fma_f64 v[48:49], v[58:59], s[6:7], v[78:79]
	v_fma_f64 v[58:59], v[58:59], s[8:9], v[78:79]
	;; [unrolled: 1-line block ×3, first 2 shown]
	v_mul_f64 v[50:51], v[48:49], s[8:9]
	v_mul_f64 v[48:49], v[48:49], 0.5
	v_fma_f64 v[56:57], v[56:57], s[6:7], v[80:81]
	v_fma_f64 v[54:55], v[52:53], 0.5, v[50:51]
	v_fma_f64 v[64:65], v[52:53], s[6:7], v[48:49]
	v_fma_f64 v[52:53], v[62:63], s[8:9], v[74:75]
	;; [unrolled: 1-line block ×3, first 2 shown]
	v_add_f64 v[50:51], v[82:83], v[64:65]
	v_add_f64 v[48:49], v[52:53], v[54:55]
	v_add_f64 v[52:53], v[52:53], -v[54:55]
	v_add_f64 v[54:55], v[82:83], -v[64:65]
	v_fma_f64 v[64:65], v[60:61], s[8:9], v[76:77]
	v_mul_f64 v[60:61], v[58:59], s[8:9]
	v_mul_f64 v[58:59], v[58:59], -0.5
	v_fma_f64 v[60:61], v[56:57], -0.5, v[60:61]
	v_fma_f64 v[74:75], v[56:57], s[6:7], v[58:59]
	v_add_f64 v[56:57], v[62:63], v[60:61]
	v_add_f64 v[58:59], v[64:65], v[74:75]
	v_add_f64 v[60:61], v[62:63], -v[60:61]
	v_add_f64 v[62:63], v[64:65], -v[74:75]
	ds_write_b128 v199, v[66:69]
	ds_write_b128 v199, v[48:51] offset:576
	ds_write_b128 v199, v[56:59] offset:1152
	;; [unrolled: 1-line block ×5, first 2 shown]
	s_waitcnt lgkmcnt(0)
	s_barrier
	ds_read_b128 v[48:51], v193 offset:3456
	ds_read_b128 v[52:55], v193 offset:6912
	;; [unrolled: 1-line block ×4, first 2 shown]
	s_waitcnt lgkmcnt(3)
	v_mul_f64 v[64:65], v[162:163], v[50:51]
	v_mul_f64 v[66:67], v[162:163], v[48:49]
	s_waitcnt lgkmcnt(2)
	v_mul_f64 v[68:69], v[166:167], v[54:55]
	v_mul_f64 v[70:71], v[166:167], v[52:53]
	v_fma_f64 v[72:73], v[160:161], v[48:49], v[64:65]
	v_fma_f64 v[74:75], v[160:161], v[50:51], -v[66:67]
	ds_read_b128 v[48:51], v193 offset:17280
	s_waitcnt lgkmcnt(2)
	v_mul_f64 v[76:77], v[142:143], v[62:63]
	v_mul_f64 v[78:79], v[142:143], v[60:61]
	v_fma_f64 v[68:69], v[164:165], v[52:53], v[68:69]
	v_fma_f64 v[70:71], v[164:165], v[54:55], -v[70:71]
	ds_read_b128 v[52:55], v193 offset:5184
	v_fma_f64 v[76:77], v[140:141], v[60:61], v[76:77]
	v_fma_f64 v[78:79], v[140:141], v[62:63], -v[78:79]
	ds_read_b128 v[60:63], v193 offset:12096
	s_waitcnt lgkmcnt(3)
	v_mul_f64 v[66:67], v[146:147], v[56:57]
	v_mul_f64 v[64:65], v[146:147], v[58:59]
	s_waitcnt lgkmcnt(0)
	v_mul_f64 v[94:95], v[150:151], v[60:61]
	v_add_f64 v[108:109], v[70:71], -v[78:79]
	v_fma_f64 v[82:83], v[144:145], v[58:59], -v[66:67]
	v_mul_f64 v[66:67], v[138:139], v[48:49]
	v_fma_f64 v[80:81], v[144:145], v[56:57], v[64:65]
	ds_read_b128 v[56:59], v193 offset:8640
	v_mul_f64 v[86:87], v[154:155], v[52:53]
	v_mul_f64 v[64:65], v[138:139], v[50:51]
	;; [unrolled: 1-line block ×3, first 2 shown]
	v_fma_f64 v[94:95], v[148:149], v[62:63], -v[94:95]
	s_waitcnt lgkmcnt(0)
	v_mul_f64 v[92:93], v[158:159], v[56:57]
	v_fma_f64 v[90:91], v[136:137], v[50:51], -v[66:67]
	v_mul_f64 v[50:51], v[158:159], v[58:59]
	v_fma_f64 v[86:87], v[152:153], v[54:55], -v[86:87]
	v_mul_f64 v[54:55], v[150:151], v[62:63]
	v_fma_f64 v[88:89], v[136:137], v[48:49], v[64:65]
	ds_read_b128 v[64:67], v193 offset:15552
	v_fma_f64 v[84:85], v[152:153], v[52:53], v[84:85]
	v_fma_f64 v[92:93], v[156:157], v[58:59], -v[92:93]
	v_fma_f64 v[96:97], v[156:157], v[56:57], v[50:51]
	ds_read_b128 v[50:53], v193 offset:19008
	v_add_f64 v[100:101], v[82:83], v[90:91]
	v_fma_f64 v[60:61], v[148:149], v[60:61], v[54:55]
	ds_read_b128 v[54:57], v193
	s_waitcnt lgkmcnt(2)
	v_mul_f64 v[58:59], v[122:123], v[66:67]
	v_mul_f64 v[98:99], v[122:123], v[64:65]
	s_waitcnt lgkmcnt(1)
	v_mul_f64 v[62:63], v[126:127], v[52:53]
	v_mul_f64 v[102:103], v[126:127], v[50:51]
	s_waitcnt lgkmcnt(0)
	v_add_f64 v[106:107], v[54:55], v[68:69]
	v_mad_u64_u32 v[48:49], s[10:11], s2, v192, 0
	v_fma_f64 v[104:105], v[120:121], v[64:65], v[58:59]
	v_fma_f64 v[66:67], v[120:121], v[66:67], -v[98:99]
	v_add_f64 v[58:59], v[68:69], v[76:77]
	v_add_f64 v[64:65], v[80:81], v[88:89]
	v_fma_f64 v[98:99], v[124:125], v[50:51], v[62:63]
	v_fma_f64 v[62:63], v[100:101], -0.5, v[74:75]
	v_add_f64 v[100:101], v[80:81], -v[88:89]
	v_add_f64 v[50:51], v[70:71], v[78:79]
	v_add_f64 v[70:71], v[56:57], v[70:71]
	;; [unrolled: 1-line block ×3, first 2 shown]
	v_fma_f64 v[54:55], v[58:59], -0.5, v[54:55]
	v_fma_f64 v[58:59], v[64:65], -0.5, v[72:73]
	v_add_f64 v[64:65], v[82:83], -v[90:91]
	v_add_f64 v[72:73], v[72:73], v[80:81]
	v_fma_f64 v[110:111], v[100:101], s[6:7], v[62:63]
	v_fma_f64 v[62:63], v[100:101], s[8:9], v[62:63]
	v_fma_f64 v[102:103], v[124:125], v[52:53], -v[102:103]
	v_fma_f64 v[56:57], v[50:51], -0.5, v[56:57]
	v_add_f64 v[106:107], v[106:107], v[76:77]
	v_add_f64 v[68:69], v[68:69], -v[76:77]
	v_fma_f64 v[80:81], v[64:65], s[8:9], v[58:59]
	v_add_f64 v[70:71], v[70:71], v[78:79]
	v_mul_f64 v[82:83], v[110:111], s[8:9]
	v_add_f64 v[72:73], v[72:73], v[88:89]
	v_fma_f64 v[64:65], v[64:65], s[6:7], v[58:59]
	v_add_f64 v[74:75], v[74:75], v[90:91]
	v_mul_f64 v[90:91], v[110:111], 0.5
	ds_read_b128 v[50:53], v193 offset:1728
	v_fma_f64 v[100:101], v[108:109], s[8:9], v[54:55]
	v_fma_f64 v[76:77], v[108:109], s[6:7], v[54:55]
	v_fma_f64 v[78:79], v[80:81], 0.5, v[82:83]
	v_mul_f64 v[82:83], v[62:63], s[8:9]
	v_mul_f64 v[62:63], v[62:63], -0.5
	v_fma_f64 v[88:89], v[68:69], s[6:7], v[56:57]
	v_fma_f64 v[108:109], v[68:69], s[8:9], v[56:57]
	v_add_f64 v[54:55], v[106:107], v[72:73]
	v_add_f64 v[56:57], v[70:71], v[74:75]
	v_fma_f64 v[80:81], v[80:81], s[6:7], v[90:91]
	v_add_f64 v[110:111], v[92:93], v[66:67]
	v_fma_f64 v[68:69], v[64:65], -0.5, v[82:83]
	v_add_f64 v[82:83], v[96:97], v[104:105]
	v_fma_f64 v[90:91], v[64:65], s[6:7], v[62:63]
	v_add_f64 v[62:63], v[106:107], -v[72:73]
	s_waitcnt lgkmcnt(0)
	v_add_f64 v[72:73], v[50:51], v[96:97]
	v_add_f64 v[64:65], v[70:71], -v[74:75]
	v_add_f64 v[70:71], v[94:95], v[102:103]
	v_add_f64 v[74:75], v[92:93], -v[66:67]
	v_add_f64 v[58:59], v[100:101], v[78:79]
	v_fma_f64 v[50:51], v[82:83], -0.5, v[50:51]
	v_add_f64 v[82:83], v[52:53], v[92:93]
	v_add_f64 v[92:93], v[60:61], v[98:99]
	;; [unrolled: 1-line block ×3, first 2 shown]
	v_add_f64 v[72:73], v[96:97], -v[104:105]
	v_fma_f64 v[70:71], v[70:71], -0.5, v[86:87]
	v_add_f64 v[96:97], v[60:61], -v[98:99]
	v_fma_f64 v[52:53], v[110:111], -0.5, v[52:53]
	v_fma_f64 v[104:105], v[74:75], s[8:9], v[50:51]
	v_fma_f64 v[110:111], v[74:75], s[6:7], v[50:51]
	v_add_f64 v[60:61], v[84:85], v[60:61]
	v_fma_f64 v[74:75], v[92:93], -0.5, v[84:85]
	v_add_f64 v[84:85], v[94:95], -v[102:103]
	v_add_f64 v[92:93], v[82:83], v[66:67]
	v_fma_f64 v[66:67], v[96:97], s[6:7], v[70:71]
	v_fma_f64 v[70:71], v[96:97], s[8:9], v[70:71]
	v_add_f64 v[82:83], v[86:87], v[94:95]
	v_fma_f64 v[112:113], v[72:73], s[6:7], v[52:53]
	v_fma_f64 v[96:97], v[72:73], s[8:9], v[52:53]
	;; [unrolled: 3-line block ×3, first 2 shown]
	v_mul_f64 v[84:85], v[66:67], s[8:9]
	v_mul_f64 v[94:95], v[66:67], 0.5
	v_mul_f64 v[86:87], v[70:71], s[8:9]
	v_mul_f64 v[114:115], v[70:71], -0.5
	v_add_f64 v[102:103], v[82:83], v[102:103]
	v_add_f64 v[66:67], v[100:101], -v[78:79]
	v_add_f64 v[60:61], v[88:89], v[80:81]
	v_add_f64 v[50:51], v[76:77], v[68:69]
	v_fma_f64 v[100:101], v[72:73], 0.5, v[84:85]
	v_fma_f64 v[118:119], v[72:73], s[6:7], v[94:95]
	v_fma_f64 v[116:117], v[74:75], -0.5, v[86:87]
	v_fma_f64 v[114:115], v[74:75], s[6:7], v[114:115]
	v_add_f64 v[52:53], v[108:109], v[90:91]
	v_add_f64 v[70:71], v[76:77], -v[68:69]
	v_add_f64 v[68:69], v[88:89], -v[80:81]
	;; [unrolled: 1-line block ×3, first 2 shown]
	v_add_f64 v[74:75], v[106:107], v[98:99]
	v_add_f64 v[76:77], v[92:93], v[102:103]
	v_add_f64 v[78:79], v[104:105], v[100:101]
	v_add_f64 v[80:81], v[112:113], v[118:119]
	v_add_f64 v[82:83], v[110:111], v[116:117]
	v_add_f64 v[84:85], v[96:97], v[114:115]
	v_add_f64 v[86:87], v[106:107], -v[98:99]
	v_add_f64 v[90:91], v[104:105], -v[100:101]
	;; [unrolled: 1-line block ×6, first 2 shown]
	ds_write_b128 v193, v[54:57]
	ds_write_b128 v193, v[58:61] offset:3456
	ds_write_b128 v193, v[50:53] offset:6912
	;; [unrolled: 1-line block ×11, first 2 shown]
	s_waitcnt lgkmcnt(0)
	s_barrier
	ds_read_b128 v[50:53], v193
	s_waitcnt lgkmcnt(0)
	v_mul_f64 v[54:55], v[30:31], v[52:53]
	v_mul_f64 v[30:31], v[30:31], v[50:51]
	v_mad_u64_u32 v[56:57], s[2:3], s3, v192, v[49:50]
	v_mov_b32_e32 v49, v56
	v_lshlrev_b64 v[48:49], 4, v[48:49]
	v_fma_f64 v[50:51], v[28:29], v[50:51], v[54:55]
	v_mad_u64_u32 v[54:55], s[2:3], s0, v195, 0
	v_fma_f64 v[52:53], v[28:29], v[52:53], -v[30:31]
	v_add_co_u32_e32 v58, vcc, s4, v48
	v_mov_b32_e32 v28, v55
	v_mad_u64_u32 v[55:56], s[6:7], s1, v195, v[28:29]
	ds_read_b128 v[28:31], v193 offset:3456
	v_mov_b32_e32 v48, s5
	v_addc_co_u32_e32 v59, vcc, v48, v49, vcc
	v_lshlrev_b64 v[48:49], 4, v[54:55]
	s_waitcnt lgkmcnt(0)
	v_mul_f64 v[56:57], v[34:35], v[30:31]
	v_mul_f64 v[34:35], v[34:35], v[28:29]
	s_mov_b32 s2, 0xfcd6e9e0
	s_mov_b32 s3, 0x3f4948b0
	v_mul_f64 v[50:51], v[50:51], s[2:3]
	v_mul_f64 v[52:53], v[52:53], s[2:3]
	s_mul_i32 s4, s1, 0xd80
	s_mul_hi_u32 s5, s0, 0xd80
	v_fma_f64 v[54:55], v[32:33], v[28:29], v[56:57]
	v_fma_f64 v[34:35], v[32:33], v[30:31], -v[34:35]
	ds_read_b128 v[28:31], v193 offset:6912
	v_add_co_u32_e32 v56, vcc, v58, v48
	v_addc_co_u32_e32 v57, vcc, v59, v49, vcc
	s_waitcnt lgkmcnt(0)
	v_mul_f64 v[48:49], v[38:39], v[30:31]
	v_mul_f64 v[38:39], v[38:39], v[28:29]
	;; [unrolled: 1-line block ×4, first 2 shown]
	global_store_dwordx4 v[56:57], v[50:53], off
	s_add_i32 s4, s5, s4
	s_mul_i32 s5, s0, 0xd80
	v_add_co_u32_e32 v52, vcc, s5, v56
	v_fma_f64 v[28:29], v[36:37], v[28:29], v[48:49]
	ds_read_b128 v[48:51], v193 offset:10368
	v_fma_f64 v[30:31], v[36:37], v[30:31], -v[38:39]
	v_mov_b32_e32 v36, s4
	v_addc_co_u32_e32 v53, vcc, v57, v36, vcc
	global_store_dwordx4 v[52:53], v[32:35], off
	ds_read_b128 v[32:35], v193 offset:13824
	s_waitcnt lgkmcnt(1)
	v_mul_f64 v[36:37], v[42:43], v[50:51]
	v_mul_f64 v[38:39], v[42:43], v[48:49]
	;; [unrolled: 1-line block ×4, first 2 shown]
	v_add_co_u32_e32 v42, vcc, s5, v52
	v_mov_b32_e32 v43, s4
	v_addc_co_u32_e32 v43, vcc, v53, v43, vcc
	v_fma_f64 v[36:37], v[40:41], v[48:49], v[36:37]
	v_fma_f64 v[38:39], v[40:41], v[50:51], -v[38:39]
	s_waitcnt lgkmcnt(0)
	v_mul_f64 v[40:41], v[46:47], v[34:35]
	v_mul_f64 v[46:47], v[46:47], v[32:33]
	global_store_dwordx4 v[42:43], v[28:31], off
	v_add_co_u32_e32 v42, vcc, s5, v42
	s_mulk_i32 s1, 0xc340
	v_mul_f64 v[28:29], v[36:37], s[2:3]
	v_mul_f64 v[30:31], v[38:39], s[2:3]
	ds_read_b128 v[36:39], v193 offset:17280
	v_fma_f64 v[32:33], v[44:45], v[32:33], v[40:41]
	v_fma_f64 v[34:35], v[44:45], v[34:35], -v[46:47]
	v_mov_b32_e32 v40, s4
	v_addc_co_u32_e32 v43, vcc, v43, v40, vcc
	s_waitcnt lgkmcnt(0)
	v_mul_f64 v[40:41], v[26:27], v[38:39]
	v_mul_f64 v[44:45], v[26:27], v[36:37]
	global_store_dwordx4 v[42:43], v[28:31], off
	v_mul_f64 v[26:27], v[32:33], s[2:3]
	v_mul_f64 v[28:29], v[34:35], s[2:3]
	ds_read_b128 v[30:33], v193 offset:1728
	v_add_co_u32_e32 v34, vcc, s5, v42
	v_fma_f64 v[36:37], v[24:25], v[36:37], v[40:41]
	v_fma_f64 v[24:25], v[24:25], v[38:39], -v[44:45]
	v_mov_b32_e32 v35, s4
	v_addc_co_u32_e32 v35, vcc, v43, v35, vcc
	global_store_dwordx4 v[34:35], v[26:29], off
	ds_read_b128 v[26:29], v193 offset:5184
	s_waitcnt lgkmcnt(1)
	v_mul_f64 v[38:39], v[22:23], v[32:33]
	v_mul_f64 v[40:41], v[22:23], v[30:31]
	;; [unrolled: 1-line block ×4, first 2 shown]
	v_add_co_u32_e32 v34, vcc, s5, v34
	s_waitcnt lgkmcnt(0)
	v_mul_f64 v[36:37], v[18:19], v[26:27]
	v_fma_f64 v[30:31], v[20:21], v[30:31], v[38:39]
	v_fma_f64 v[20:21], v[20:21], v[32:33], -v[40:41]
	v_mov_b32_e32 v32, s4
	v_addc_co_u32_e32 v35, vcc, v35, v32, vcc
	v_mul_f64 v[32:33], v[18:19], v[28:29]
	global_store_dwordx4 v[34:35], v[22:25], off
	ds_read_b128 v[22:25], v193 offset:8640
	v_mul_f64 v[18:19], v[30:31], s[2:3]
	v_mul_f64 v[20:21], v[20:21], s[2:3]
	v_fma_f64 v[28:29], v[16:17], v[28:29], -v[36:37]
	v_mad_u64_u32 v[30:31], s[6:7], s0, v194, v[34:35]
	v_fma_f64 v[26:27], v[16:17], v[26:27], v[32:33]
	s_waitcnt lgkmcnt(0)
	v_mul_f64 v[32:33], v[10:11], v[24:25]
	v_mul_f64 v[10:11], v[10:11], v[22:23]
	s_sub_i32 s0, s1, s0
	v_add_u32_e32 v31, s0, v31
	global_store_dwordx4 v[30:31], v[18:21], off
	v_mul_f64 v[16:17], v[26:27], s[2:3]
	v_mul_f64 v[18:19], v[28:29], s[2:3]
	v_fma_f64 v[28:29], v[8:9], v[22:23], v[32:33]
	v_fma_f64 v[10:11], v[8:9], v[24:25], -v[10:11]
	v_add_co_u32_e32 v26, vcc, s5, v30
	v_mov_b32_e32 v8, s4
	v_addc_co_u32_e32 v27, vcc, v31, v8, vcc
	ds_read_b128 v[20:23], v193 offset:12096
	v_mul_f64 v[8:9], v[28:29], s[2:3]
	v_mul_f64 v[10:11], v[10:11], s[2:3]
	global_store_dwordx4 v[26:27], v[16:19], off
	v_add_co_u32_e32 v26, vcc, s5, v26
	v_mov_b32_e32 v28, s4
	v_addc_co_u32_e32 v27, vcc, v27, v28, vcc
	global_store_dwordx4 v[26:27], v[8:11], off
	ds_read_b128 v[8:11], v193 offset:19008
	s_waitcnt lgkmcnt(1)
	v_mul_f64 v[24:25], v[14:15], v[22:23]
	v_mul_f64 v[14:15], v[14:15], v[20:21]
	v_fma_f64 v[16:17], v[12:13], v[20:21], v[24:25]
	v_fma_f64 v[18:19], v[12:13], v[22:23], -v[14:15]
	ds_read_b128 v[12:15], v193 offset:15552
	s_waitcnt lgkmcnt(1)
	v_mul_f64 v[22:23], v[6:7], v[10:11]
	v_mul_f64 v[6:7], v[6:7], v[8:9]
	v_add_co_u32_e32 v24, vcc, s5, v26
	s_waitcnt lgkmcnt(0)
	v_mul_f64 v[20:21], v[2:3], v[14:15]
	v_mul_f64 v[2:3], v[2:3], v[12:13]
	;; [unrolled: 1-line block ×4, first 2 shown]
	v_fma_f64 v[8:9], v[4:5], v[8:9], v[22:23]
	v_fma_f64 v[6:7], v[4:5], v[10:11], -v[6:7]
	v_mov_b32_e32 v11, s4
	v_fma_f64 v[12:13], v[0:1], v[12:13], v[20:21]
	v_fma_f64 v[2:3], v[0:1], v[14:15], -v[2:3]
	v_mov_b32_e32 v0, s4
	v_addc_co_u32_e32 v25, vcc, v27, v0, vcc
	v_mul_f64 v[4:5], v[8:9], s[2:3]
	v_mul_f64 v[6:7], v[6:7], s[2:3]
	v_add_co_u32_e32 v10, vcc, s5, v24
	v_mul_f64 v[0:1], v[12:13], s[2:3]
	v_mul_f64 v[2:3], v[2:3], s[2:3]
	v_addc_co_u32_e32 v11, vcc, v25, v11, vcc
	global_store_dwordx4 v[24:25], v[16:19], off
	global_store_dwordx4 v[10:11], v[0:3], off
	s_nop 0
	v_add_co_u32_e32 v0, vcc, s5, v10
	v_mov_b32_e32 v1, s4
	v_addc_co_u32_e32 v1, vcc, v11, v1, vcc
	global_store_dwordx4 v[0:1], v[4:7], off
.LBB0_2:
	s_endpgm
	.section	.rodata,"a",@progbits
	.p2align	6, 0x0
	.amdhsa_kernel bluestein_single_fwd_len1296_dim1_dp_op_CI_CI
		.amdhsa_group_segment_fixed_size 20736
		.amdhsa_private_segment_fixed_size 0
		.amdhsa_kernarg_size 104
		.amdhsa_user_sgpr_count 6
		.amdhsa_user_sgpr_private_segment_buffer 1
		.amdhsa_user_sgpr_dispatch_ptr 0
		.amdhsa_user_sgpr_queue_ptr 0
		.amdhsa_user_sgpr_kernarg_segment_ptr 1
		.amdhsa_user_sgpr_dispatch_id 0
		.amdhsa_user_sgpr_flat_scratch_init 0
		.amdhsa_user_sgpr_private_segment_size 0
		.amdhsa_uses_dynamic_stack 0
		.amdhsa_system_sgpr_private_segment_wavefront_offset 0
		.amdhsa_system_sgpr_workgroup_id_x 1
		.amdhsa_system_sgpr_workgroup_id_y 0
		.amdhsa_system_sgpr_workgroup_id_z 0
		.amdhsa_system_sgpr_workgroup_info 0
		.amdhsa_system_vgpr_workitem_id 0
		.amdhsa_next_free_vgpr 240
		.amdhsa_next_free_sgpr 20
		.amdhsa_reserve_vcc 1
		.amdhsa_reserve_flat_scratch 0
		.amdhsa_float_round_mode_32 0
		.amdhsa_float_round_mode_16_64 0
		.amdhsa_float_denorm_mode_32 3
		.amdhsa_float_denorm_mode_16_64 3
		.amdhsa_dx10_clamp 1
		.amdhsa_ieee_mode 1
		.amdhsa_fp16_overflow 0
		.amdhsa_exception_fp_ieee_invalid_op 0
		.amdhsa_exception_fp_denorm_src 0
		.amdhsa_exception_fp_ieee_div_zero 0
		.amdhsa_exception_fp_ieee_overflow 0
		.amdhsa_exception_fp_ieee_underflow 0
		.amdhsa_exception_fp_ieee_inexact 0
		.amdhsa_exception_int_div_zero 0
	.end_amdhsa_kernel
	.text
.Lfunc_end0:
	.size	bluestein_single_fwd_len1296_dim1_dp_op_CI_CI, .Lfunc_end0-bluestein_single_fwd_len1296_dim1_dp_op_CI_CI
                                        ; -- End function
	.section	.AMDGPU.csdata,"",@progbits
; Kernel info:
; codeLenInByte = 13556
; NumSgprs: 24
; NumVgprs: 240
; ScratchSize: 0
; MemoryBound: 0
; FloatMode: 240
; IeeeMode: 1
; LDSByteSize: 20736 bytes/workgroup (compile time only)
; SGPRBlocks: 2
; VGPRBlocks: 59
; NumSGPRsForWavesPerEU: 24
; NumVGPRsForWavesPerEU: 240
; Occupancy: 1
; WaveLimiterHint : 1
; COMPUTE_PGM_RSRC2:SCRATCH_EN: 0
; COMPUTE_PGM_RSRC2:USER_SGPR: 6
; COMPUTE_PGM_RSRC2:TRAP_HANDLER: 0
; COMPUTE_PGM_RSRC2:TGID_X_EN: 1
; COMPUTE_PGM_RSRC2:TGID_Y_EN: 0
; COMPUTE_PGM_RSRC2:TGID_Z_EN: 0
; COMPUTE_PGM_RSRC2:TIDIG_COMP_CNT: 0
	.type	__hip_cuid_c4cdeec61a33c198,@object ; @__hip_cuid_c4cdeec61a33c198
	.section	.bss,"aw",@nobits
	.globl	__hip_cuid_c4cdeec61a33c198
__hip_cuid_c4cdeec61a33c198:
	.byte	0                               ; 0x0
	.size	__hip_cuid_c4cdeec61a33c198, 1

	.ident	"AMD clang version 19.0.0git (https://github.com/RadeonOpenCompute/llvm-project roc-6.4.0 25133 c7fe45cf4b819c5991fe208aaa96edf142730f1d)"
	.section	".note.GNU-stack","",@progbits
	.addrsig
	.addrsig_sym __hip_cuid_c4cdeec61a33c198
	.amdgpu_metadata
---
amdhsa.kernels:
  - .args:
      - .actual_access:  read_only
        .address_space:  global
        .offset:         0
        .size:           8
        .value_kind:     global_buffer
      - .actual_access:  read_only
        .address_space:  global
        .offset:         8
        .size:           8
        .value_kind:     global_buffer
      - .actual_access:  read_only
        .address_space:  global
        .offset:         16
        .size:           8
        .value_kind:     global_buffer
      - .actual_access:  read_only
        .address_space:  global
        .offset:         24
        .size:           8
        .value_kind:     global_buffer
      - .actual_access:  read_only
        .address_space:  global
        .offset:         32
        .size:           8
        .value_kind:     global_buffer
      - .offset:         40
        .size:           8
        .value_kind:     by_value
      - .address_space:  global
        .offset:         48
        .size:           8
        .value_kind:     global_buffer
      - .address_space:  global
        .offset:         56
        .size:           8
        .value_kind:     global_buffer
      - .address_space:  global
        .offset:         64
        .size:           8
        .value_kind:     global_buffer
      - .address_space:  global
        .offset:         72
        .size:           8
        .value_kind:     global_buffer
      - .offset:         80
        .size:           4
        .value_kind:     by_value
      - .address_space:  global
        .offset:         88
        .size:           8
        .value_kind:     global_buffer
      - .address_space:  global
        .offset:         96
        .size:           8
        .value_kind:     global_buffer
    .group_segment_fixed_size: 20736
    .kernarg_segment_align: 8
    .kernarg_segment_size: 104
    .language:       OpenCL C
    .language_version:
      - 2
      - 0
    .max_flat_workgroup_size: 108
    .name:           bluestein_single_fwd_len1296_dim1_dp_op_CI_CI
    .private_segment_fixed_size: 0
    .sgpr_count:     24
    .sgpr_spill_count: 0
    .symbol:         bluestein_single_fwd_len1296_dim1_dp_op_CI_CI.kd
    .uniform_work_group_size: 1
    .uses_dynamic_stack: false
    .vgpr_count:     240
    .vgpr_spill_count: 0
    .wavefront_size: 64
amdhsa.target:   amdgcn-amd-amdhsa--gfx906
amdhsa.version:
  - 1
  - 2
...

	.end_amdgpu_metadata
